;; amdgpu-corpus repo=ROCm/rocSPARSE kind=compiled arch=gfx906 opt=O3
	.amdgcn_target "amdgcn-amd-amdhsa--gfx906"
	.amdhsa_code_object_version 6
	.section	.text._ZN9rocsparseL19gpsv_strided_gatherILj256EfEEviiiPKT0_PS1_,"axG",@progbits,_ZN9rocsparseL19gpsv_strided_gatherILj256EfEEviiiPKT0_PS1_,comdat
	.globl	_ZN9rocsparseL19gpsv_strided_gatherILj256EfEEviiiPKT0_PS1_ ; -- Begin function _ZN9rocsparseL19gpsv_strided_gatherILj256EfEEviiiPKT0_PS1_
	.p2align	8
	.type	_ZN9rocsparseL19gpsv_strided_gatherILj256EfEEviiiPKT0_PS1_,@function
_ZN9rocsparseL19gpsv_strided_gatherILj256EfEEviiiPKT0_PS1_: ; @_ZN9rocsparseL19gpsv_strided_gatherILj256EfEEviiiPKT0_PS1_
; %bb.0:
	s_load_dword s7, s[4:5], 0x2c
	s_load_dwordx4 s[0:3], s[4:5], 0x0
	s_waitcnt lgkmcnt(0)
	s_and_b32 s3, s7, 0xffff
	s_mul_i32 s6, s6, s3
	s_cmp_gt_i32 s0, 0
	v_add_u32_e32 v0, s6, v0
	v_cmp_gt_i32_e32 vcc, s1, v0
	s_cselect_b64 s[6:7], -1, 0
	s_and_b64 s[6:7], vcc, s[6:7]
	s_and_saveexec_b64 s[8:9], s[6:7]
	s_cbranch_execz .LBB0_3
; %bb.1:
	s_load_dwordx4 s[4:7], s[4:5], 0x10
	v_mov_b32_e32 v2, v0
	s_waitcnt lgkmcnt(0)
	v_mov_b32_e32 v4, s5
	v_mov_b32_e32 v5, s7
.LBB0_2:                                ; =>This Inner Loop Header: Depth=1
	v_ashrrev_i32_e32 v1, 31, v0
	v_lshlrev_b64 v[6:7], 2, v[0:1]
	v_ashrrev_i32_e32 v3, 31, v2
	v_add_co_u32_e32 v6, vcc, s4, v6
	v_addc_co_u32_e32 v7, vcc, v4, v7, vcc
	global_load_dword v1, v[6:7], off
	v_lshlrev_b64 v[6:7], 2, v[2:3]
	s_add_i32 s0, s0, -1
	v_add_co_u32_e32 v6, vcc, s6, v6
	v_add_u32_e32 v2, s1, v2
	s_cmp_lg_u32 s0, 0
	v_addc_co_u32_e32 v7, vcc, v5, v7, vcc
	v_add_u32_e32 v0, s2, v0
	s_waitcnt vmcnt(0)
	global_store_dword v[6:7], v1, off
	s_cbranch_scc1 .LBB0_2
.LBB0_3:
	s_endpgm
	.section	.rodata,"a",@progbits
	.p2align	6, 0x0
	.amdhsa_kernel _ZN9rocsparseL19gpsv_strided_gatherILj256EfEEviiiPKT0_PS1_
		.amdhsa_group_segment_fixed_size 0
		.amdhsa_private_segment_fixed_size 0
		.amdhsa_kernarg_size 288
		.amdhsa_user_sgpr_count 6
		.amdhsa_user_sgpr_private_segment_buffer 1
		.amdhsa_user_sgpr_dispatch_ptr 0
		.amdhsa_user_sgpr_queue_ptr 0
		.amdhsa_user_sgpr_kernarg_segment_ptr 1
		.amdhsa_user_sgpr_dispatch_id 0
		.amdhsa_user_sgpr_flat_scratch_init 0
		.amdhsa_user_sgpr_private_segment_size 0
		.amdhsa_uses_dynamic_stack 0
		.amdhsa_system_sgpr_private_segment_wavefront_offset 0
		.amdhsa_system_sgpr_workgroup_id_x 1
		.amdhsa_system_sgpr_workgroup_id_y 0
		.amdhsa_system_sgpr_workgroup_id_z 0
		.amdhsa_system_sgpr_workgroup_info 0
		.amdhsa_system_vgpr_workitem_id 0
		.amdhsa_next_free_vgpr 8
		.amdhsa_next_free_sgpr 10
		.amdhsa_reserve_vcc 1
		.amdhsa_reserve_flat_scratch 0
		.amdhsa_float_round_mode_32 0
		.amdhsa_float_round_mode_16_64 0
		.amdhsa_float_denorm_mode_32 3
		.amdhsa_float_denorm_mode_16_64 3
		.amdhsa_dx10_clamp 1
		.amdhsa_ieee_mode 1
		.amdhsa_fp16_overflow 0
		.amdhsa_exception_fp_ieee_invalid_op 0
		.amdhsa_exception_fp_denorm_src 0
		.amdhsa_exception_fp_ieee_div_zero 0
		.amdhsa_exception_fp_ieee_overflow 0
		.amdhsa_exception_fp_ieee_underflow 0
		.amdhsa_exception_fp_ieee_inexact 0
		.amdhsa_exception_int_div_zero 0
	.end_amdhsa_kernel
	.section	.text._ZN9rocsparseL19gpsv_strided_gatherILj256EfEEviiiPKT0_PS1_,"axG",@progbits,_ZN9rocsparseL19gpsv_strided_gatherILj256EfEEviiiPKT0_PS1_,comdat
.Lfunc_end0:
	.size	_ZN9rocsparseL19gpsv_strided_gatherILj256EfEEviiiPKT0_PS1_, .Lfunc_end0-_ZN9rocsparseL19gpsv_strided_gatherILj256EfEEviiiPKT0_PS1_
                                        ; -- End function
	.set _ZN9rocsparseL19gpsv_strided_gatherILj256EfEEviiiPKT0_PS1_.num_vgpr, 8
	.set _ZN9rocsparseL19gpsv_strided_gatherILj256EfEEviiiPKT0_PS1_.num_agpr, 0
	.set _ZN9rocsparseL19gpsv_strided_gatherILj256EfEEviiiPKT0_PS1_.numbered_sgpr, 10
	.set _ZN9rocsparseL19gpsv_strided_gatherILj256EfEEviiiPKT0_PS1_.num_named_barrier, 0
	.set _ZN9rocsparseL19gpsv_strided_gatherILj256EfEEviiiPKT0_PS1_.private_seg_size, 0
	.set _ZN9rocsparseL19gpsv_strided_gatherILj256EfEEviiiPKT0_PS1_.uses_vcc, 1
	.set _ZN9rocsparseL19gpsv_strided_gatherILj256EfEEviiiPKT0_PS1_.uses_flat_scratch, 0
	.set _ZN9rocsparseL19gpsv_strided_gatherILj256EfEEviiiPKT0_PS1_.has_dyn_sized_stack, 0
	.set _ZN9rocsparseL19gpsv_strided_gatherILj256EfEEviiiPKT0_PS1_.has_recursion, 0
	.set _ZN9rocsparseL19gpsv_strided_gatherILj256EfEEviiiPKT0_PS1_.has_indirect_call, 0
	.section	.AMDGPU.csdata,"",@progbits
; Kernel info:
; codeLenInByte = 168
; TotalNumSgprs: 14
; NumVgprs: 8
; ScratchSize: 0
; MemoryBound: 0
; FloatMode: 240
; IeeeMode: 1
; LDSByteSize: 0 bytes/workgroup (compile time only)
; SGPRBlocks: 1
; VGPRBlocks: 1
; NumSGPRsForWavesPerEU: 14
; NumVGPRsForWavesPerEU: 8
; Occupancy: 10
; WaveLimiterHint : 0
; COMPUTE_PGM_RSRC2:SCRATCH_EN: 0
; COMPUTE_PGM_RSRC2:USER_SGPR: 6
; COMPUTE_PGM_RSRC2:TRAP_HANDLER: 0
; COMPUTE_PGM_RSRC2:TGID_X_EN: 1
; COMPUTE_PGM_RSRC2:TGID_Y_EN: 0
; COMPUTE_PGM_RSRC2:TGID_Z_EN: 0
; COMPUTE_PGM_RSRC2:TIDIG_COMP_CNT: 0
	.section	.text._ZN9rocsparseL44gpsv_interleaved_batch_householder_qr_kernelILj256EfEEviiiPT0_S2_S2_S2_S2_S2_S2_S2_S2_,"axG",@progbits,_ZN9rocsparseL44gpsv_interleaved_batch_householder_qr_kernelILj256EfEEviiiPT0_S2_S2_S2_S2_S2_S2_S2_S2_,comdat
	.globl	_ZN9rocsparseL44gpsv_interleaved_batch_householder_qr_kernelILj256EfEEviiiPT0_S2_S2_S2_S2_S2_S2_S2_S2_ ; -- Begin function _ZN9rocsparseL44gpsv_interleaved_batch_householder_qr_kernelILj256EfEEviiiPT0_S2_S2_S2_S2_S2_S2_S2_S2_
	.p2align	8
	.type	_ZN9rocsparseL44gpsv_interleaved_batch_householder_qr_kernelILj256EfEEviiiPT0_S2_S2_S2_S2_S2_S2_S2_S2_,@function
_ZN9rocsparseL44gpsv_interleaved_batch_householder_qr_kernelILj256EfEEviiiPT0_S2_S2_S2_S2_S2_S2_S2_S2_: ; @_ZN9rocsparseL44gpsv_interleaved_batch_householder_qr_kernelILj256EfEEviiiPT0_S2_S2_S2_S2_S2_S2_S2_S2_
; %bb.0:
	s_load_dword s0, s[4:5], 0x64
	s_load_dwordx4 s[8:11], s[4:5], 0x0
	s_waitcnt lgkmcnt(0)
	s_and_b32 s0, s0, 0xffff
	s_mul_i32 s11, s6, s0
	v_add_u32_e32 v27, s11, v0
	v_cmp_gt_i32_e32 vcc, s9, v27
	s_and_saveexec_b64 s[0:1], vcc
	s_cbranch_execz .LBB1_24
; %bb.1:
	s_load_dwordx2 s[6:7], s[4:5], 0x50
	s_load_dwordx4 s[12:15], s[4:5], 0x40
	s_load_dwordx4 s[16:19], s[4:5], 0x20
	s_load_dwordx2 s[20:21], s[4:5], 0x30
	s_cmp_lt_i32 s8, 2
	s_cbranch_scc1 .LBB1_11
; %bb.2:
	s_load_dwordx2 s[2:3], s[4:5], 0x18
	s_add_i32 s26, s8, -2
	s_cmp_eq_u32 s26, 0
	s_mov_b32 s0, 0
	s_cbranch_scc1 .LBB1_8
; %bb.3:
	s_load_dwordx2 s[22:23], s[4:5], 0x10
	v_add_u32_e32 v28, s9, v0
	v_lshl_add_u32 v29, s9, 1, v0
	v_lshl_add_u32 v30, s10, 1, v0
	v_add_u32_e32 v31, s10, v0
	s_mov_b32 s27, 0
	s_waitcnt lgkmcnt(0)
	v_mov_b32_e32 v32, s3
	v_mov_b32_e32 v33, s23
	s_mov_b32 s23, 0xf800000
	v_mov_b32_e32 v34, 0x260
	v_mov_b32_e32 v35, v0
	;; [unrolled: 1-line block ×3, first 2 shown]
	s_branch .LBB1_5
.LBB1_4:                                ;   in Loop: Header=BB1_5 Depth=1
	s_or_b64 exec, exec, s[24:25]
	s_add_i32 s27, s27, 1
	v_add_u32_e32 v36, s9, v36
	v_add_u32_e32 v28, s9, v28
	v_add_u32_e32 v29, s9, v29
	v_add_u32_e32 v30, s10, v30
	v_add_u32_e32 v31, s10, v31
	s_cmp_eq_u32 s26, s27
	v_add_u32_e32 v35, s10, v35
	s_cbranch_scc1 .LBB1_7
.LBB1_5:                                ; =>This Inner Loop Header: Depth=1
	v_add_u32_e32 v1, s11, v31
	v_ashrrev_i32_e32 v2, 31, v1
	v_add_u32_e32 v3, s11, v30
	v_lshlrev_b64 v[15:16], 2, v[1:2]
	v_ashrrev_i32_e32 v4, 31, v3
	v_add_co_u32_e32 v13, vcc, s2, v15
	v_lshlrev_b64 v[9:10], 2, v[3:4]
	v_addc_co_u32_e32 v14, vcc, v32, v16, vcc
	v_add_co_u32_e32 v11, vcc, s22, v9
	v_addc_co_u32_e32 v12, vcc, v33, v10, vcc
	global_load_dword v37, v[11:12], off
	global_load_dword v38, v[13:14], off
	s_waitcnt vmcnt(1)
	v_mul_f32_e32 v39, v37, v37
	s_waitcnt vmcnt(0)
	v_fmac_f32_e32 v39, v38, v38
	v_cmp_neq_f32_e32 vcc, 0, v39
	s_and_saveexec_b64 s[24:25], vcc
	s_cbranch_execz .LBB1_4
; %bb.6:                                ;   in Loop: Header=BB1_5 Depth=1
	v_add_u32_e32 v1, s11, v29
	v_ashrrev_i32_e32 v2, 31, v1
	v_lshlrev_b64 v[1:2], 2, v[1:2]
	v_mov_b32_e32 v3, s7
	v_add_co_u32_e32 v1, vcc, s6, v1
	v_addc_co_u32_e32 v2, vcc, v3, v2, vcc
	v_mov_b32_e32 v4, s21
	v_add_co_u32_e32 v3, vcc, s20, v9
	v_addc_co_u32_e32 v4, vcc, v4, v10, vcc
	;; [unrolled: 3-line block ×7, first 2 shown]
	v_mov_b32_e32 v17, s17
	v_add_co_u32_e32 v25, vcc, s16, v15
	v_add_u32_e32 v15, s11, v35
	v_addc_co_u32_e32 v26, vcc, v17, v16, vcc
	v_ashrrev_i32_e32 v16, 31, v15
	v_lshlrev_b64 v[15:16], 2, v[15:16]
	v_mov_b32_e32 v19, s13
	v_add_co_u32_e32 v40, vcc, s16, v15
	v_addc_co_u32_e32 v41, vcc, v17, v16, vcc
	v_mov_b32_e32 v17, s19
	v_add_co_u32_e32 v42, vcc, s18, v15
	v_addc_co_u32_e32 v43, vcc, v17, v16, vcc
	v_mov_b32_e32 v17, s21
	v_add_co_u32_e32 v44, vcc, s20, v15
	v_add_u32_e32 v15, s11, v28
	v_addc_co_u32_e32 v45, vcc, v17, v16, vcc
	v_ashrrev_i32_e32 v16, 31, v15
	v_lshlrev_b64 v[17:18], 2, v[15:16]
	v_mov_b32_e32 v16, s7
	v_add_co_u32_e32 v15, vcc, s6, v17
	v_addc_co_u32_e32 v16, vcc, v16, v18, vcc
	v_add_co_u32_e32 v17, vcc, s12, v17
	v_addc_co_u32_e32 v18, vcc, v19, v18, vcc
	v_add_u32_e32 v19, s11, v36
	v_ashrrev_i32_e32 v20, 31, v19
	v_lshlrev_b64 v[19:20], 2, v[19:20]
	v_mov_b32_e32 v47, s13
	v_add_co_u32_e32 v46, vcc, s12, v19
	v_addc_co_u32_e32 v47, vcc, v47, v20, vcc
	v_mov_b32_e32 v49, s15
	v_add_co_u32_e32 v48, vcc, s14, v19
	v_addc_co_u32_e32 v49, vcc, v49, v20, vcc
	;; [unrolled: 3-line block ×3, first 2 shown]
	global_load_dword v50, v[40:41], off
	s_waitcnt vmcnt(0)
	v_fma_f32 v51, v50, v50, v39
	v_cmp_gt_f32_e32 vcc, s23, v51
	v_mul_f32_e32 v52, 0x4f800000, v51
	v_cndmask_b32_e32 v51, v51, v52, vcc
	v_sqrt_f32_e32 v52, v51
	v_add_u32_e32 v53, -1, v52
	v_fma_f32 v54, -v53, v52, v51
	v_cmp_ge_f32_e64 s[0:1], 0, v54
	v_add_u32_e32 v54, 1, v52
	v_cndmask_b32_e64 v53, v52, v53, s[0:1]
	v_fma_f32 v52, -v54, v52, v51
	v_cmp_lt_f32_e64 s[0:1], 0, v52
	v_cndmask_b32_e64 v52, v53, v54, s[0:1]
	v_mul_f32_e32 v53, 0x37800000, v52
	v_cndmask_b32_e32 v52, v52, v53, vcc
	v_cmp_class_f32_e32 vcc, v51, v34
	v_cndmask_b32_e32 v51, v52, v51, vcc
	v_cmp_lt_f32_e32 vcc, 0, v50
	v_cndmask_b32_e64 v51, -v51, v51, vcc
	v_add_f32_e32 v51, v50, v51
	v_div_scale_f32 v52, s[0:1], v51, v51, v38
	v_fmac_f32_e32 v39, v51, v51
	v_rcp_f32_e32 v53, v52
	v_fma_f32 v54, -v52, v53, 1.0
	v_fmac_f32_e32 v53, v54, v53
	v_div_scale_f32 v54, vcc, v38, v51, v38
	v_mul_f32_e32 v55, v54, v53
	v_fma_f32 v56, -v52, v55, v54
	v_fmac_f32_e32 v55, v56, v53
	v_fma_f32 v52, -v52, v55, v54
	v_div_fmas_f32 v52, v52, v53, v55
	v_div_scale_f32 v53, s[0:1], v51, v51, v37
	v_div_fixup_f32 v52, v52, v51, v38
	v_rcp_f32_e32 v54, v53
	v_fma_f32 v38, v52, v38, v50
	v_fma_f32 v55, -v53, v54, 1.0
	v_fmac_f32_e32 v54, v55, v54
	v_div_scale_f32 v55, vcc, v37, v51, v37
	v_mul_f32_e32 v56, v55, v54
	v_fma_f32 v57, -v53, v56, v55
	v_fmac_f32_e32 v56, v57, v54
	v_fma_f32 v53, -v53, v56, v55
	v_div_fmas_f32 v53, v53, v54, v56
	v_mul_f32_e32 v54, v51, v51
	v_add_f32_e32 v54, v54, v54
	v_div_scale_f32 v55, s[0:1], v39, v39, v54
	v_div_fixup_f32 v51, v53, v51, v37
	v_fmac_f32_e32 v38, v51, v37
	v_rcp_f32_e32 v56, v55
	v_fma_f32 v57, -v55, v56, 1.0
	v_fmac_f32_e32 v56, v57, v56
	v_div_scale_f32 v57, vcc, v54, v39, v54
	v_mul_f32_e32 v58, v57, v56
	v_fma_f32 v59, -v55, v58, v57
	v_fmac_f32_e32 v58, v59, v56
	v_fma_f32 v55, -v55, v58, v57
	v_div_fmas_f32 v55, v55, v56, v58
	v_div_fixup_f32 v39, v55, v39, v54
	v_fma_f32 v37, -v38, v39, v50
	global_load_dword v38, v[25:26], off
	global_load_dword v50, v[7:8], off
	s_nop 0
	global_store_dword v[40:41], v37, off
	global_load_dword v37, v[42:43], off
	s_nop 0
	global_load_dword v40, v[9:10], off
	global_load_dword v53, v[5:6], off
	;; [unrolled: 1-line block ×3, first 2 shown]
	s_waitcnt vmcnt(3)
	v_fma_f32 v41, v52, v38, v37
	s_waitcnt vmcnt(2)
	v_fmac_f32_e32 v41, v51, v40
	v_fma_f32 v37, -v41, v39, v37
	global_store_dword v[42:43], v37, off
	global_load_dword v37, v[44:45], off
	s_nop 0
	global_load_dword v43, v[3:4], off
	global_load_dword v55, v[21:22], off
	s_waitcnt vmcnt(2)
	v_fma_f32 v42, v52, v54, v37
	v_fmac_f32_e32 v42, v51, v50
	v_fma_f32 v37, -v42, v39, v37
	global_store_dword v[44:45], v37, off
	global_load_dword v37, v[46:47], off
	s_nop 0
	global_load_dword v45, v[17:18], off
	s_waitcnt vmcnt(1)
	v_fma_f32 v44, v52, v55, v37
	v_fmac_f32_e32 v44, v51, v53
	v_fma_f32 v37, -v44, v39, v37
	global_store_dword v[46:47], v37, off
	global_load_dword v37, v[48:49], off
	s_waitcnt vmcnt(0)
	v_fma_f32 v45, v52, v45, v37
	v_fmac_f32_e32 v45, v51, v43
	v_fma_f32 v37, -v45, v39, v37
	global_store_dword v[48:49], v37, off
	v_mul_f32_e32 v37, v41, v39
	v_fma_f32 v38, -v37, v52, v38
	global_store_dword v[25:26], v38, off
	v_mul_f32_e32 v25, v42, v39
	;; [unrolled: 3-line block ×3, first 2 shown]
	v_fma_f32 v24, -v23, v52, v55
	global_store_dword v[21:22], v24, off
	v_fma_f32 v21, v52, v52, 1.0
	v_fmac_f32_e32 v21, v51, v51
	v_div_scale_f32 v22, s[0:1], v21, v21, 2.0
	global_store_dword v[13:14], v52, off
	global_load_dword v13, v[15:16], off
	v_mul_f32_e32 v14, v45, v39
	global_store_dword v[11:12], v51, off
	global_load_dword v11, v[19:20], off
	s_nop 0
	global_load_dword v12, v[1:2], off
	v_rcp_f32_e32 v24, v22
	v_fma_f32 v26, -v22, v24, 1.0
	v_fmac_f32_e32 v24, v26, v24
	v_div_scale_f32 v26, vcc, 2.0, v21, 2.0
	v_mul_f32_e32 v38, v26, v24
	v_fma_f32 v41, -v22, v38, v26
	v_fmac_f32_e32 v38, v41, v24
	v_fma_f32 v22, -v22, v38, v26
	v_div_fmas_f32 v22, v22, v24, v38
	global_load_dword v24, v[17:18], off
	v_fma_f32 v26, -v37, v51, v40
	v_div_fixup_f32 v21, v22, v21, 2.0
	s_waitcnt vmcnt(2)
	v_fma_f32 v37, v52, v13, v11
	s_waitcnt vmcnt(1)
	v_fmac_f32_e32 v37, v51, v12
	v_fma_f32 v11, -v37, v21, v11
	v_mul_f32_e32 v21, v37, v21
	global_store_dword v[19:20], v11, off
	v_fma_f32 v11, -v52, v21, v13
	global_store_dword v[15:16], v11, off
	s_waitcnt vmcnt(2)
	v_fma_f32 v11, -v14, v52, v24
	global_store_dword v[17:18], v11, off
	global_store_dword v[9:10], v26, off
	v_fma_f32 v9, -v25, v51, v50
	global_store_dword v[7:8], v9, off
	v_fma_f32 v7, -v23, v51, v53
	;; [unrolled: 2-line block ×4, first 2 shown]
	global_store_dword v[1:2], v3, off
	s_branch .LBB1_4
.LBB1_7:
	s_mov_b32 s0, s26
.LBB1_8:
	s_mul_i32 s1, s0, s10
	v_add_u32_e32 v5, s1, v27
	v_add_u32_e32 v1, s10, v5
	v_ashrrev_i32_e32 v2, 31, v1
	v_lshlrev_b64 v[3:4], 2, v[1:2]
	s_waitcnt lgkmcnt(0)
	v_mov_b32_e32 v2, s3
	v_add_co_u32_e32 v1, vcc, s2, v3
	v_addc_co_u32_e32 v2, vcc, v2, v4, vcc
	global_load_dword v7, v[1:2], off
	s_waitcnt vmcnt(0)
	v_fma_f32 v8, v7, v7, 0
	v_cmp_neq_f32_e32 vcc, 0, v8
	s_and_saveexec_b64 s[22:23], vcc
	s_cbranch_execz .LBB1_10
; %bb.9:
	v_ashrrev_i32_e32 v6, 31, v5
	v_lshlrev_b64 v[5:6], 2, v[5:6]
	v_mov_b32_e32 v10, s17
	v_add_co_u32_e32 v9, vcc, s16, v5
	v_addc_co_u32_e32 v10, vcc, v10, v6, vcc
	global_load_dword v28, v[9:10], off
	v_mov_b32_e32 v12, s17
	v_add_co_u32_e32 v11, vcc, s16, v3
	v_addc_co_u32_e32 v12, vcc, v12, v4, vcc
	v_mov_b32_e32 v14, s19
	v_add_co_u32_e32 v13, vcc, s18, v3
	v_addc_co_u32_e32 v14, vcc, v14, v4, vcc
	v_mov_b32_e32 v15, s21
	v_add_co_u32_e32 v3, vcc, s20, v3
	s_mul_i32 s0, s0, s9
	v_addc_co_u32_e32 v4, vcc, v15, v4, vcc
	v_mov_b32_e32 v18, s19
	v_add_u32_e32 v15, s0, v27
	v_add_co_u32_e32 v19, vcc, s18, v5
	v_ashrrev_i32_e32 v16, 31, v15
	v_addc_co_u32_e32 v20, vcc, v18, v6, vcc
	v_mov_b32_e32 v21, s21
	v_add_u32_e32 v17, s9, v15
	v_add_co_u32_e32 v5, vcc, s20, v5
	v_lshlrev_b64 v[15:16], 2, v[15:16]
	v_addc_co_u32_e32 v6, vcc, v21, v6, vcc
	v_mov_b32_e32 v22, s13
	v_add_co_u32_e32 v21, vcc, s12, v15
	v_addc_co_u32_e32 v22, vcc, v22, v16, vcc
	global_load_dword v27, v[11:12], off
	global_load_dword v31, v[13:14], off
	;; [unrolled: 1-line block ×6, first 2 shown]
	v_mov_b32_e32 v24, s15
	v_add_co_u32_e32 v23, vcc, s14, v15
	v_addc_co_u32_e32 v24, vcc, v24, v16, vcc
	v_mov_b32_e32 v25, s7
	v_add_co_u32_e32 v15, vcc, s6, v15
	s_mov_b32 s1, 0xf800000
	v_addc_co_u32_e32 v16, vcc, v25, v16, vcc
	v_ashrrev_i32_e32 v18, 31, v17
	v_lshlrev_b64 v[17:18], 2, v[17:18]
	v_mov_b32_e32 v26, s7
	v_mov_b32_e32 v30, 0x260
	;; [unrolled: 1-line block ×3, first 2 shown]
	s_waitcnt vmcnt(6)
	v_fma_f32 v25, v28, v28, v8
	v_mul_f32_e32 v35, 0x4f800000, v25
	v_cmp_gt_f32_e32 vcc, s1, v25
	v_cndmask_b32_e32 v35, v25, v35, vcc
	v_sqrt_f32_e32 v36, v35
	v_add_co_u32_e64 v25, s[0:1], s6, v17
	v_addc_co_u32_e64 v26, s[0:1], v26, v18, s[0:1]
	v_add_u32_e32 v38, -1, v36
	v_add_u32_e32 v39, 1, v36
	v_fma_f32 v40, -v38, v36, v35
	v_fma_f32 v41, -v39, v36, v35
	v_cmp_ge_f32_e64 s[0:1], 0, v40
	v_cndmask_b32_e64 v36, v36, v38, s[0:1]
	v_cmp_lt_f32_e64 s[0:1], 0, v41
	v_cndmask_b32_e64 v36, v36, v39, s[0:1]
	v_mul_f32_e32 v38, 0x37800000, v36
	v_cndmask_b32_e32 v36, v36, v38, vcc
	v_cmp_class_f32_e32 vcc, v35, v30
	v_cndmask_b32_e32 v30, v36, v35, vcc
	v_cmp_lt_f32_e32 vcc, 0, v28
	v_cndmask_b32_e64 v30, -v30, v30, vcc
	v_add_f32_e32 v30, v28, v30
	v_div_scale_f32 v35, s[0:1], v30, v30, v7
	v_div_scale_f32 v36, s[0:1], v30, v30, 0
	v_add_co_u32_e32 v17, vcc, s12, v17
	v_addc_co_u32_e32 v18, vcc, v29, v18, vcc
	v_div_scale_f32 v40, vcc, v7, v30, v7
	v_mul_f32_e32 v43, v30, v30
	v_fmac_f32_e32 v8, v30, v30
	v_add_f32_e32 v43, v43, v43
	v_div_scale_f32 v44, s[2:3], v8, v8, v43
	v_div_scale_f32 v41, s[0:1], 0, v30, 0
	;; [unrolled: 1-line block ×3, first 2 shown]
	v_rcp_f32_e32 v45, v35
	v_rcp_f32_e32 v46, v36
	global_load_dword v29, v[23:24], off
	global_load_dword v38, v[15:16], off
	;; [unrolled: 1-line block ×4, first 2 shown]
	v_fma_f32 v48, -v35, v45, 1.0
	v_fmac_f32_e32 v45, v48, v45
	v_mul_f32_e32 v48, v40, v45
	v_fma_f32 v50, -v35, v48, v40
	v_fma_f32 v49, -v36, v46, 1.0
	v_fmac_f32_e32 v48, v50, v45
	v_fmac_f32_e32 v46, v49, v46
	v_fma_f32 v35, -v35, v48, v40
	v_rcp_f32_e32 v40, v44
	v_mul_f32_e32 v49, v41, v46
	v_fma_f32 v51, -v36, v49, v41
	v_fmac_f32_e32 v49, v51, v46
	v_fma_f32 v36, -v36, v49, v41
	v_fma_f32 v41, -v44, v40, 1.0
	v_fmac_f32_e32 v40, v41, v40
	v_mul_f32_e32 v41, v47, v40
	v_div_fmas_f32 v35, v35, v45, v48
	v_fma_f32 v45, -v44, v41, v47
	s_mov_b64 vcc, s[0:1]
	v_fmac_f32_e32 v41, v45, v40
	v_div_fmas_f32 v36, v36, v46, v49
	v_fma_f32 v44, -v44, v41, v47
	s_mov_b64 vcc, s[2:3]
	v_div_fmas_f32 v40, v44, v40, v41
	v_div_fixup_f32 v35, v35, v30, v7
	global_store_dword v[1:2], v35, off
	v_fma_f32 v7, v35, v7, v28
	v_div_fixup_f32 v30, v36, v30, 0
	s_waitcnt vmcnt(5)
	v_fma_f32 v36, v35, v32, v37
	v_fmac_f32_e32 v36, 0, v30
	v_div_fixup_f32 v8, v40, v8, v43
	v_fma_f32 v37, -v36, v8, v37
	global_store_dword v[21:22], v37, off
	global_load_dword v21, v[17:18], off
	v_fma_f32 v22, v35, v35, 1.0
	v_fmac_f32_e32 v22, v30, v30
	v_div_scale_f32 v37, s[0:1], v22, v22, 2.0
	v_div_scale_f32 v41, vcc, 2.0, v22, 2.0
	v_fma_f32 v40, v35, v27, v33
	v_fmac_f32_e32 v7, 0, v30
	v_fmac_f32_e32 v40, 0, v30
	v_fma_f32 v7, -v7, v8, v28
	v_fma_f32 v28, -v40, v8, v33
	v_fma_f32 v43, v35, v31, v34
	v_fmac_f32_e32 v43, 0, v30
	v_mul_f32_e32 v36, v36, v8
	v_rcp_f32_e32 v2, v37
	v_fma_f32 v33, -v37, v2, 1.0
	v_fmac_f32_e32 v2, v33, v2
	v_mul_f32_e32 v33, v41, v2
	s_waitcnt vmcnt(4)
	v_fma_f32 v39, v35, v39, v29
	s_waitcnt vmcnt(3)
	v_fma_f32 v1, v35, v42, v38
	v_fmac_f32_e32 v39, 0, v30
	v_fmac_f32_e32 v1, 0, v30
	v_fma_f32 v30, -v43, v8, v34
	v_fma_f32 v34, -v37, v33, v41
	v_fmac_f32_e32 v33, v34, v2
	v_fma_f32 v34, -v37, v33, v41
	v_div_fmas_f32 v2, v34, v2, v33
	v_mul_f32_e32 v33, v40, v8
	v_fma_f32 v29, -v39, v8, v29
	v_mul_f32_e32 v34, v43, v8
	v_mul_f32_e32 v8, v39, v8
	global_store_dword v[9:10], v7, off
	global_store_dword v[19:20], v28, off
	;; [unrolled: 1-line block ×4, first 2 shown]
	v_fma_f32 v5, -v33, v35, v27
	v_fma_f32 v6, -v34, v35, v31
	;; [unrolled: 1-line block ×3, first 2 shown]
	global_store_dword v[11:12], v5, off
	global_store_dword v[13:14], v6, off
	;; [unrolled: 1-line block ×3, first 2 shown]
	v_div_fixup_f32 v2, v2, v22, 2.0
	v_mul_f32_e32 v3, v1, v2
	v_fma_f32 v1, -v1, v2, v38
	global_store_dword v[15:16], v1, off
	v_fma_f32 v1, -v35, v3, v42
	s_waitcnt vmcnt(8)
	v_fma_f32 v2, -v8, v35, v21
	global_store_dword v[17:18], v2, off
	global_store_dword v[25:26], v1, off
.LBB1_10:
	s_or_b64 exec, exec, s[22:23]
.LBB1_11:
	s_cmp_lt_i32 s8, 1
	s_cbranch_scc1 .LBB1_24
; %bb.12:
	s_mul_i32 s2, s10, s8
	v_add_u32_e32 v4, s2, v0
	s_add_i32 s2, s8, 3
	s_mul_i32 s2, s10, s2
	v_add_u32_e32 v5, s2, v0
	s_add_i32 s2, s8, 2
	s_mul_i32 s2, s10, s2
	s_load_dwordx2 s[0:1], s[4:5], 0x38
	v_add_u32_e32 v6, s2, v0
	s_add_i32 s2, s8, 1
	s_mul_i32 s2, s10, s2
	v_add_u32_e32 v7, s2, v0
	s_add_i32 s2, s8, -1
	s_mul_i32 s3, s10, s2
	s_mul_i32 s2, s9, s2
	v_add_u32_e32 v8, s3, v0
	v_add_u32_e32 v9, s2, v0
	s_mov_b32 s4, s8
	s_branch .LBB1_14
.LBB1_13:                               ;   in Loop: Header=BB1_14 Depth=1
	s_waitcnt lgkmcnt(0)
	v_mov_b32_e32 v11, s7
	v_add_co_u32_e32 v2, vcc, s6, v2
	v_lshlrev_b64 v[0:1], 2, v[0:1]
	v_addc_co_u32_e32 v3, vcc, v11, v3, vcc
	global_load_dword v11, v[2:3], off
	v_mov_b32_e32 v3, s17
	v_add_co_u32_e32 v2, vcc, s16, v0
	v_addc_co_u32_e32 v3, vcc, v3, v1, vcc
	global_load_dword v2, v[2:3], off
	v_subrev_u32_e32 v4, s10, v4
	v_subrev_u32_e32 v5, s10, v5
	v_subrev_u32_e32 v6, s10, v6
	v_subrev_u32_e32 v7, s10, v7
	v_subrev_u32_e32 v8, s10, v8
	v_subrev_u32_e32 v9, s9, v9
	s_waitcnt vmcnt(1)
	v_sub_f32_e32 v3, v11, v10
	s_waitcnt vmcnt(0)
	v_div_scale_f32 v10, s[2:3], v2, v2, v3
	v_div_scale_f32 v11, vcc, v3, v2, v3
	s_add_i32 s2, s4, -1
	s_cmp_gt_u32 s4, 1
	s_mov_b32 s4, s2
	v_rcp_f32_e32 v12, v10
	v_fma_f32 v13, -v10, v12, 1.0
	v_fmac_f32_e32 v12, v13, v12
	v_mul_f32_e32 v13, v11, v12
	v_fma_f32 v14, -v10, v13, v11
	v_fmac_f32_e32 v13, v14, v12
	v_fma_f32 v10, -v10, v13, v11
	v_div_fmas_f32 v10, v10, v12, v13
	v_mov_b32_e32 v11, s1
	v_add_co_u32_e32 v0, vcc, s0, v0
	v_addc_co_u32_e32 v1, vcc, v11, v1, vcc
	v_div_fixup_f32 v2, v10, v2, v3
	global_store_dword v[0:1], v2, off
	s_cbranch_scc0 .LBB1_24
.LBB1_14:                               ; =>This Inner Loop Header: Depth=1
	v_add_u32_e32 v0, s11, v8
	s_cmp_ge_i32 s4, s8
	v_ashrrev_i32_e32 v1, 31, v0
	v_mov_b32_e32 v10, 0
	s_cbranch_scc1 .LBB1_16
; %bb.15:                               ;   in Loop: Header=BB1_14 Depth=1
	v_lshlrev_b64 v[2:3], 2, v[0:1]
	s_waitcnt lgkmcnt(0)
	v_mov_b32_e32 v10, s19
	v_add_co_u32_e32 v2, vcc, s18, v2
	v_addc_co_u32_e32 v3, vcc, v10, v3, vcc
	global_load_dword v10, v[2:3], off
	v_add_u32_e32 v2, s11, v4
	v_ashrrev_i32_e32 v3, 31, v2
	v_lshlrev_b64 v[2:3], 2, v[2:3]
	v_mov_b32_e32 v11, s1
	v_add_co_u32_e32 v2, vcc, s0, v2
	v_addc_co_u32_e32 v3, vcc, v11, v3, vcc
	global_load_dword v2, v[2:3], off
	s_waitcnt vmcnt(0)
	v_fma_f32 v10, v10, v2, 0
.LBB1_16:                               ;   in Loop: Header=BB1_14 Depth=1
	s_add_i32 s5, s4, 1
	s_cmp_ge_i32 s5, s8
	s_cbranch_scc1 .LBB1_18
; %bb.17:                               ;   in Loop: Header=BB1_14 Depth=1
	v_lshlrev_b64 v[2:3], 2, v[0:1]
	s_waitcnt lgkmcnt(0)
	v_mov_b32_e32 v11, s21
	v_add_co_u32_e32 v2, vcc, s20, v2
	v_addc_co_u32_e32 v3, vcc, v11, v3, vcc
	global_load_dword v11, v[2:3], off
	v_add_u32_e32 v2, s11, v7
	v_ashrrev_i32_e32 v3, 31, v2
	v_lshlrev_b64 v[2:3], 2, v[2:3]
	v_mov_b32_e32 v12, s1
	v_add_co_u32_e32 v2, vcc, s0, v2
	v_addc_co_u32_e32 v3, vcc, v12, v3, vcc
	global_load_dword v2, v[2:3], off
	s_waitcnt vmcnt(0)
	v_fmac_f32_e32 v10, v11, v2
.LBB1_18:                               ;   in Loop: Header=BB1_14 Depth=1
	s_add_i32 s5, s5, 1
	v_add_u32_e32 v2, s11, v9
	s_cmp_lt_i32 s5, s8
	s_mov_b64 s[2:3], -1
	s_cbranch_scc0 .LBB1_21
; %bb.19:                               ;   in Loop: Header=BB1_14 Depth=1
	s_andn2_b64 vcc, exec, s[2:3]
	s_cbranch_vccz .LBB1_22
.LBB1_20:                               ;   in Loop: Header=BB1_14 Depth=1
	s_add_i32 s5, s5, 1
	v_lshlrev_b64 v[2:3], 2, v[2:3]
	s_cmp_ge_i32 s5, s8
	s_cbranch_scc1 .LBB1_13
	s_branch .LBB1_23
.LBB1_21:                               ;   in Loop: Header=BB1_14 Depth=1
	v_ashrrev_i32_e32 v3, 31, v2
	s_cbranch_execnz .LBB1_20
.LBB1_22:                               ;   in Loop: Header=BB1_14 Depth=1
	v_ashrrev_i32_e32 v3, 31, v2
	v_lshlrev_b64 v[11:12], 2, v[2:3]
	s_waitcnt lgkmcnt(0)
	v_mov_b32_e32 v13, s13
	v_add_co_u32_e32 v11, vcc, s12, v11
	v_addc_co_u32_e32 v12, vcc, v13, v12, vcc
	global_load_dword v13, v[11:12], off
	v_add_u32_e32 v11, s11, v6
	v_ashrrev_i32_e32 v12, 31, v11
	v_lshlrev_b64 v[11:12], 2, v[11:12]
	v_mov_b32_e32 v14, s1
	v_add_co_u32_e32 v11, vcc, s0, v11
	v_addc_co_u32_e32 v12, vcc, v14, v12, vcc
	global_load_dword v11, v[11:12], off
	s_waitcnt vmcnt(0)
	v_fmac_f32_e32 v10, v13, v11
	s_add_i32 s5, s5, 1
	v_lshlrev_b64 v[2:3], 2, v[2:3]
	s_cmp_ge_i32 s5, s8
	s_cbranch_scc1 .LBB1_13
.LBB1_23:                               ;   in Loop: Header=BB1_14 Depth=1
	s_waitcnt lgkmcnt(0)
	v_mov_b32_e32 v12, s15
	v_add_co_u32_e32 v11, vcc, s14, v2
	v_addc_co_u32_e32 v12, vcc, v12, v3, vcc
	global_load_dword v13, v[11:12], off
	v_add_u32_e32 v11, s11, v5
	v_ashrrev_i32_e32 v12, 31, v11
	v_lshlrev_b64 v[11:12], 2, v[11:12]
	v_mov_b32_e32 v14, s1
	v_add_co_u32_e32 v11, vcc, s0, v11
	v_addc_co_u32_e32 v12, vcc, v14, v12, vcc
	global_load_dword v11, v[11:12], off
	s_waitcnt vmcnt(0)
	v_fmac_f32_e32 v10, v13, v11
	s_branch .LBB1_13
.LBB1_24:
	s_endpgm
	.section	.rodata,"a",@progbits
	.p2align	6, 0x0
	.amdhsa_kernel _ZN9rocsparseL44gpsv_interleaved_batch_householder_qr_kernelILj256EfEEviiiPT0_S2_S2_S2_S2_S2_S2_S2_S2_
		.amdhsa_group_segment_fixed_size 0
		.amdhsa_private_segment_fixed_size 0
		.amdhsa_kernarg_size 344
		.amdhsa_user_sgpr_count 6
		.amdhsa_user_sgpr_private_segment_buffer 1
		.amdhsa_user_sgpr_dispatch_ptr 0
		.amdhsa_user_sgpr_queue_ptr 0
		.amdhsa_user_sgpr_kernarg_segment_ptr 1
		.amdhsa_user_sgpr_dispatch_id 0
		.amdhsa_user_sgpr_flat_scratch_init 0
		.amdhsa_user_sgpr_private_segment_size 0
		.amdhsa_uses_dynamic_stack 0
		.amdhsa_system_sgpr_private_segment_wavefront_offset 0
		.amdhsa_system_sgpr_workgroup_id_x 1
		.amdhsa_system_sgpr_workgroup_id_y 0
		.amdhsa_system_sgpr_workgroup_id_z 0
		.amdhsa_system_sgpr_workgroup_info 0
		.amdhsa_system_vgpr_workitem_id 0
		.amdhsa_next_free_vgpr 60
		.amdhsa_next_free_sgpr 28
		.amdhsa_reserve_vcc 1
		.amdhsa_reserve_flat_scratch 0
		.amdhsa_float_round_mode_32 0
		.amdhsa_float_round_mode_16_64 0
		.amdhsa_float_denorm_mode_32 3
		.amdhsa_float_denorm_mode_16_64 3
		.amdhsa_dx10_clamp 1
		.amdhsa_ieee_mode 1
		.amdhsa_fp16_overflow 0
		.amdhsa_exception_fp_ieee_invalid_op 0
		.amdhsa_exception_fp_denorm_src 0
		.amdhsa_exception_fp_ieee_div_zero 0
		.amdhsa_exception_fp_ieee_overflow 0
		.amdhsa_exception_fp_ieee_underflow 0
		.amdhsa_exception_fp_ieee_inexact 0
		.amdhsa_exception_int_div_zero 0
	.end_amdhsa_kernel
	.section	.text._ZN9rocsparseL44gpsv_interleaved_batch_householder_qr_kernelILj256EfEEviiiPT0_S2_S2_S2_S2_S2_S2_S2_S2_,"axG",@progbits,_ZN9rocsparseL44gpsv_interleaved_batch_householder_qr_kernelILj256EfEEviiiPT0_S2_S2_S2_S2_S2_S2_S2_S2_,comdat
.Lfunc_end1:
	.size	_ZN9rocsparseL44gpsv_interleaved_batch_householder_qr_kernelILj256EfEEviiiPT0_S2_S2_S2_S2_S2_S2_S2_S2_, .Lfunc_end1-_ZN9rocsparseL44gpsv_interleaved_batch_householder_qr_kernelILj256EfEEviiiPT0_S2_S2_S2_S2_S2_S2_S2_S2_
                                        ; -- End function
	.set _ZN9rocsparseL44gpsv_interleaved_batch_householder_qr_kernelILj256EfEEviiiPT0_S2_S2_S2_S2_S2_S2_S2_S2_.num_vgpr, 60
	.set _ZN9rocsparseL44gpsv_interleaved_batch_householder_qr_kernelILj256EfEEviiiPT0_S2_S2_S2_S2_S2_S2_S2_S2_.num_agpr, 0
	.set _ZN9rocsparseL44gpsv_interleaved_batch_householder_qr_kernelILj256EfEEviiiPT0_S2_S2_S2_S2_S2_S2_S2_S2_.numbered_sgpr, 28
	.set _ZN9rocsparseL44gpsv_interleaved_batch_householder_qr_kernelILj256EfEEviiiPT0_S2_S2_S2_S2_S2_S2_S2_S2_.num_named_barrier, 0
	.set _ZN9rocsparseL44gpsv_interleaved_batch_householder_qr_kernelILj256EfEEviiiPT0_S2_S2_S2_S2_S2_S2_S2_S2_.private_seg_size, 0
	.set _ZN9rocsparseL44gpsv_interleaved_batch_householder_qr_kernelILj256EfEEviiiPT0_S2_S2_S2_S2_S2_S2_S2_S2_.uses_vcc, 1
	.set _ZN9rocsparseL44gpsv_interleaved_batch_householder_qr_kernelILj256EfEEviiiPT0_S2_S2_S2_S2_S2_S2_S2_S2_.uses_flat_scratch, 0
	.set _ZN9rocsparseL44gpsv_interleaved_batch_householder_qr_kernelILj256EfEEviiiPT0_S2_S2_S2_S2_S2_S2_S2_S2_.has_dyn_sized_stack, 0
	.set _ZN9rocsparseL44gpsv_interleaved_batch_householder_qr_kernelILj256EfEEviiiPT0_S2_S2_S2_S2_S2_S2_S2_S2_.has_recursion, 0
	.set _ZN9rocsparseL44gpsv_interleaved_batch_householder_qr_kernelILj256EfEEviiiPT0_S2_S2_S2_S2_S2_S2_S2_S2_.has_indirect_call, 0
	.section	.AMDGPU.csdata,"",@progbits
; Kernel info:
; codeLenInByte = 3388
; TotalNumSgprs: 32
; NumVgprs: 60
; ScratchSize: 0
; MemoryBound: 0
; FloatMode: 240
; IeeeMode: 1
; LDSByteSize: 0 bytes/workgroup (compile time only)
; SGPRBlocks: 3
; VGPRBlocks: 14
; NumSGPRsForWavesPerEU: 32
; NumVGPRsForWavesPerEU: 60
; Occupancy: 4
; WaveLimiterHint : 0
; COMPUTE_PGM_RSRC2:SCRATCH_EN: 0
; COMPUTE_PGM_RSRC2:USER_SGPR: 6
; COMPUTE_PGM_RSRC2:TRAP_HANDLER: 0
; COMPUTE_PGM_RSRC2:TGID_X_EN: 1
; COMPUTE_PGM_RSRC2:TGID_Y_EN: 0
; COMPUTE_PGM_RSRC2:TGID_Z_EN: 0
; COMPUTE_PGM_RSRC2:TIDIG_COMP_CNT: 0
	.section	.text._ZN9rocsparseL39gpsv_interleaved_batch_givens_qr_kernelILj128EfEEviiiPT0_S2_S2_S2_S2_S2_S2_S2_,"axG",@progbits,_ZN9rocsparseL39gpsv_interleaved_batch_givens_qr_kernelILj128EfEEviiiPT0_S2_S2_S2_S2_S2_S2_S2_,comdat
	.globl	_ZN9rocsparseL39gpsv_interleaved_batch_givens_qr_kernelILj128EfEEviiiPT0_S2_S2_S2_S2_S2_S2_S2_ ; -- Begin function _ZN9rocsparseL39gpsv_interleaved_batch_givens_qr_kernelILj128EfEEviiiPT0_S2_S2_S2_S2_S2_S2_S2_
	.p2align	8
	.type	_ZN9rocsparseL39gpsv_interleaved_batch_givens_qr_kernelILj128EfEEviiiPT0_S2_S2_S2_S2_S2_S2_S2_,@function
_ZN9rocsparseL39gpsv_interleaved_batch_givens_qr_kernelILj128EfEEviiiPT0_S2_S2_S2_S2_S2_S2_S2_: ; @_ZN9rocsparseL39gpsv_interleaved_batch_givens_qr_kernelILj128EfEEviiiPT0_S2_S2_S2_S2_S2_S2_S2_
; %bb.0:
	s_load_dwordx4 s[16:19], s[4:5], 0x0
	s_waitcnt lgkmcnt(0)
	s_lshl_b32 s19, s6, 7
	v_or_b32_e32 v9, s19, v0
	v_cmp_gt_i32_e32 vcc, s17, v9
	s_and_saveexec_b64 s[0:1], vcc
	s_cbranch_execz .LBB2_7
; %bb.1:
	s_load_dwordx2 s[6:7], s[4:5], 0x48
	s_load_dwordx4 s[20:23], s[4:5], 0x38
	s_load_dwordx8 s[8:15], s[4:5], 0x18
	s_add_i32 s24, s16, -2
	s_cmp_lt_i32 s16, 3
	s_cbranch_scc1 .LBB2_4
; %bb.2:
	s_load_dwordx2 s[4:5], s[4:5], 0x10
	s_lshl_b32 s25, s18, 1
	s_waitcnt lgkmcnt(0)
	v_mov_b32_e32 v4, s9
	v_mov_b32_e32 v5, s11
	;; [unrolled: 1-line block ×5, first 2 shown]
	s_mov_b32 s5, 0xf800000
	v_mov_b32_e32 v10, 0x260
	v_mov_b32_e32 v11, s21
	;; [unrolled: 1-line block ×5, first 2 shown]
	s_mov_b32 s26, s24
	v_mov_b32_e32 v1, v9
.LBB2_3:                                ; =>This Inner Loop Header: Depth=1
	v_add_u32_e32 v16, s25, v2
	v_ashrrev_i32_e32 v17, 31, v16
	v_add_u32_e32 v14, s18, v2
	v_lshlrev_b64 v[16:17], 2, v[16:17]
	v_ashrrev_i32_e32 v15, 31, v14
	v_lshlrev_b64 v[18:19], 2, v[14:15]
	v_add_co_u32_e32 v20, vcc, s4, v16
	v_addc_co_u32_e32 v21, vcc, v7, v17, vcc
	v_add_co_u32_e32 v22, vcc, s8, v18
	v_addc_co_u32_e32 v23, vcc, v4, v19, vcc
	;; [unrolled: 2-line block ×3, first 2 shown]
	global_load_dword v3, v[20:21], off
	global_load_dword v15, v[22:23], off
	;; [unrolled: 1-line block ×3, first 2 shown]
	s_add_i32 s26, s26, -1
	s_cmp_eq_u32 s26, 0
	s_waitcnt vmcnt(2)
	v_mul_f32_e32 v20, v3, v3
	s_waitcnt vmcnt(1)
	v_fmac_f32_e32 v20, v15, v15
	v_mul_f32_e32 v21, 0x4f800000, v20
	v_cmp_gt_f32_e32 vcc, s5, v20
	v_cndmask_b32_e32 v20, v20, v21, vcc
	v_sqrt_f32_e32 v21, v20
	v_add_u32_e32 v26, -1, v21
	v_add_u32_e32 v27, 1, v21
	v_fma_f32 v28, -v26, v21, v20
	v_fma_f32 v29, -v27, v21, v20
	v_cmp_ge_f32_e64 s[0:1], 0, v28
	v_cndmask_b32_e64 v21, v21, v26, s[0:1]
	v_cmp_lt_f32_e64 s[0:1], 0, v29
	v_cndmask_b32_e64 v21, v21, v27, s[0:1]
	v_mul_f32_e32 v26, 0x37800000, v21
	v_cndmask_b32_e32 v21, v21, v26, vcc
	v_cmp_class_f32_e32 vcc, v20, v10
	v_cndmask_b32_e32 v30, v21, v20, vcc
	v_div_scale_f32 v20, s[0:1], v30, v30, v15
	v_div_scale_f32 v28, s[0:1], v30, v30, v3
	v_div_scale_f32 v21, vcc, v15, v30, v15
	v_div_scale_f32 v29, s[0:1], v3, v30, v3
	v_rcp_f32_e32 v26, v20
	v_rcp_f32_e32 v31, v28
	v_fma_f32 v27, -v20, v26, 1.0
	v_fmac_f32_e32 v26, v27, v26
	v_fma_f32 v33, -v28, v31, 1.0
	v_fmac_f32_e32 v31, v33, v31
	v_mul_f32_e32 v27, v21, v26
	v_mul_f32_e32 v33, v29, v31
	v_fma_f32 v34, -v20, v27, v21
	v_fmac_f32_e32 v27, v34, v26
	v_fma_f32 v34, -v28, v33, v29
	v_fmac_f32_e32 v33, v34, v31
	v_fma_f32 v34, -v20, v27, v21
	v_div_fmas_f32 v34, v34, v26, v27
	v_add_co_u32_e32 v26, vcc, s10, v16
	v_addc_co_u32_e32 v27, vcc, v5, v17, vcc
	v_fma_f32 v28, -v28, v33, v29
	s_mov_b64 vcc, s[0:1]
	v_add_co_u32_e64 v20, s[2:3], s10, v18
	s_nop 0
	v_div_fmas_f32 v31, v28, v31, v33
	v_addc_co_u32_e64 v21, s[2:3], v5, v19, s[2:3]
	v_add_co_u32_e32 v28, vcc, s12, v18
	v_addc_co_u32_e32 v29, vcc, v6, v19, vcc
	v_div_fixup_f32 v33, v34, v30, v15
	v_div_fixup_f32 v34, v31, v30, v3
	v_mul_f32_e32 v35, v3, v34
	global_load_dword v3, v[20:21], off
	v_fmac_f32_e32 v35, v15, v33
	global_store_dword v[22:23], v35, off
	s_waitcnt vmcnt(2)
	v_mul_f32_e32 v22, v32, v33
	global_load_dword v15, v[26:27], off
	v_add_co_u32_e32 v30, vcc, s12, v16
	v_addc_co_u32_e32 v31, vcc, v6, v17, vcc
	v_mul_f32_e32 v32, v32, v34
	s_waitcnt vmcnt(2)
	v_fma_f32 v22, -v3, v34, v22
	global_store_dword v[24:25], v22, off
	global_load_dword v36, v[28:29], off
	global_load_dword v37, v[30:31], off
	v_fmac_f32_e32 v32, v3, v33
	s_waitcnt vmcnt(3)
	v_mul_f32_e32 v22, v15, v33
	v_mul_f32_e32 v38, v15, v34
	s_waitcnt vmcnt(1)
	v_fma_f32 v22, -v36, v34, v22
	global_store_dword v[20:21], v32, off
	global_store_dword v[26:27], v22, off
	v_add_co_u32_e32 v22, vcc, s14, v18
	v_addc_co_u32_e32 v23, vcc, v8, v19, vcc
	v_add_co_u32_e32 v24, vcc, s14, v16
	v_addc_co_u32_e32 v25, vcc, v8, v17, vcc
	v_fmac_f32_e32 v38, v36, v33
	global_load_dword v36, v[22:23], off
	global_load_dword v39, v[24:25], off
	v_add_co_u32_e32 v18, vcc, s6, v18
	s_waitcnt vmcnt(4)
	v_mul_f32_e32 v3, v33, v37
	v_addc_co_u32_e32 v19, vcc, v12, v19, vcc
	v_add_co_u32_e32 v15, vcc, s6, v16
	v_mul_f32_e32 v37, v34, v37
	v_addc_co_u32_e32 v16, vcc, v12, v17, vcc
	s_waitcnt vmcnt(1)
	v_fma_f32 v3, -v36, v34, v3
	global_store_dword v[28:29], v38, off
	global_store_dword v[30:31], v3, off
	v_ashrrev_i32_e32 v3, 31, v2
	v_fmac_f32_e32 v37, v36, v33
	v_lshlrev_b64 v[26:27], 2, v[2:3]
	global_load_dword v2, v[15:16], off
	s_waitcnt vmcnt(3)
	v_mul_f32_e32 v3, v33, v39
	global_store_dword v[22:23], v37, off
	global_store_dword v[24:25], v3, off
	global_load_dword v3, v[18:19], off
	v_add_co_u32_e32 v24, vcc, s10, v26
	v_addc_co_u32_e32 v25, vcc, v5, v27, vcc
	v_mul_f32_e32 v36, v34, v39
	s_waitcnt vmcnt(3)
	v_mul_f32_e32 v17, v33, v2
	v_mul_f32_e32 v2, v34, v2
	s_waitcnt vmcnt(0)
	v_fmac_f32_e32 v2, v3, v33
	v_fma_f32 v17, -v3, v34, v17
	global_store_dword v[18:19], v2, off
	global_store_dword v[15:16], v17, off
	global_load_dword v17, v[24:25], off
	v_mul_f32_e32 v2, v35, v35
	s_waitcnt vmcnt(0)
	v_fmac_f32_e32 v2, v17, v17
	v_mul_f32_e32 v3, 0x4f800000, v2
	v_cmp_gt_f32_e32 vcc, s5, v2
	v_cndmask_b32_e32 v2, v2, v3, vcc
	v_sqrt_f32_e32 v3, v2
	v_add_u32_e32 v15, -1, v3
	v_add_u32_e32 v16, 1, v3
	v_fma_f32 v30, -v15, v3, v2
	v_cmp_ge_f32_e64 s[0:1], 0, v30
	v_fma_f32 v30, -v16, v3, v2
	v_cndmask_b32_e64 v3, v3, v15, s[0:1]
	v_cmp_lt_f32_e64 s[0:1], 0, v30
	v_cndmask_b32_e64 v3, v3, v16, s[0:1]
	v_mul_f32_e32 v15, 0x37800000, v3
	v_cndmask_b32_e32 v3, v3, v15, vcc
	v_cmp_class_f32_e32 vcc, v2, v10
	v_cndmask_b32_e32 v30, v3, v2, vcc
	v_div_scale_f32 v2, s[0:1], v30, v30, v17
	v_div_scale_f32 v3, vcc, v17, v30, v17
	v_rcp_f32_e32 v15, v2
	v_fma_f32 v16, -v2, v15, 1.0
	v_fmac_f32_e32 v15, v16, v15
	v_mul_f32_e32 v16, v3, v15
	v_fma_f32 v31, -v2, v16, v3
	v_fmac_f32_e32 v16, v31, v15
	v_fma_f32 v2, -v2, v16, v3
	v_div_scale_f32 v3, s[0:1], v30, v30, v35
	v_div_fmas_f32 v31, v2, v15, v16
	v_rcp_f32_e32 v15, v3
	v_fma_f32 v2, -v3, v15, 1.0
	v_fmac_f32_e32 v15, v2, v15
	v_div_scale_f32 v2, vcc, v35, v30, v35
	v_mul_f32_e32 v16, v2, v15
	v_fma_f32 v33, -v3, v16, v2
	v_fmac_f32_e32 v16, v33, v15
	v_fma_f32 v3, -v3, v16, v2
	v_div_fmas_f32 v33, v3, v15, v16
	v_ashrrev_i32_e32 v2, 31, v1
	v_lshlrev_b64 v[2:3], 2, v[1:2]
	v_add_co_u32_e32 v15, vcc, s22, v2
	v_addc_co_u32_e32 v16, vcc, v13, v3, vcc
	v_div_fixup_f32 v33, v33, v30, v35
	v_mul_f32_e32 v34, v36, v33
	global_store_dword v[15:16], v34, off
	v_div_fixup_f32 v34, v31, v30, v17
	v_add_co_u32_e32 v30, vcc, s12, v26
	v_addc_co_u32_e32 v31, vcc, v6, v27, vcc
	v_add_u32_e32 v15, s17, v1
	v_mul_f32_e32 v1, v35, v33
	global_load_dword v35, v[30:31], off
	v_fmac_f32_e32 v1, v17, v34
	global_store_dword v[24:25], v1, off
	v_mul_f32_e32 v1, v32, v34
	v_ashrrev_i32_e32 v16, 31, v15
	s_waitcnt vmcnt(1)
	v_fma_f32 v1, -v35, v33, v1
	global_store_dword v[20:21], v1, off
	v_add_co_u32_e32 v20, vcc, s14, v26
	v_addc_co_u32_e32 v21, vcc, v8, v27, vcc
	v_add_co_u32_e32 v24, vcc, s20, v2
	v_addc_co_u32_e32 v25, vcc, v11, v3, vcc
	v_add_co_u32_e32 v26, vcc, s6, v26
	v_lshlrev_b64 v[1:2], 2, v[15:16]
	v_addc_co_u32_e32 v27, vcc, v12, v27, vcc
	v_add_co_u32_e32 v16, vcc, s20, v1
	v_addc_co_u32_e32 v17, vcc, v11, v2, vcc
	v_mul_f32_e32 v1, v32, v33
	global_store_dword v[16:17], v36, off
	v_fmac_f32_e32 v1, v35, v34
	global_load_dword v2, v[24:25], off
	global_load_dword v35, v[18:19], off
	v_mul_f32_e32 v3, v38, v34
	global_store_dword v[30:31], v1, off
	global_load_dword v1, v[20:21], off
	v_mul_f32_e32 v31, v38, v33
	global_load_dword v38, v[26:27], off
	v_mul_f32_e32 v30, v37, v34
	v_mul_f32_e32 v32, v37, v33
	s_waitcnt vmcnt(4)
	v_fma_f32 v30, -v2, v33, v30
	s_waitcnt vmcnt(3)
	v_mul_f32_e32 v37, v34, v35
	v_mul_f32_e32 v35, v33, v35
	v_fmac_f32_e32 v32, v2, v34
	s_waitcnt vmcnt(1)
	v_fma_f32 v3, -v1, v33, v3
	v_fmac_f32_e32 v31, v1, v34
	v_mov_b32_e32 v2, v14
	v_mov_b32_e32 v1, v15
	s_waitcnt vmcnt(0)
	v_fma_f32 v33, -v38, v33, v37
	v_mul_f32_e32 v14, v36, v34
	v_fmac_f32_e32 v35, v38, v34
	global_store_dword v[28:29], v3, off
	global_store_dword v[20:21], v31, off
	;; [unrolled: 1-line block ×7, first 2 shown]
	s_cbranch_scc0 .LBB2_3
.LBB2_4:
	s_add_i32 s0, s16, -1
	s_mul_i32 s4, s18, s0
	v_add_u32_e32 v1, s4, v9
	v_ashrrev_i32_e32 v2, 31, v1
	s_sub_i32 s5, s4, s18
	v_lshlrev_b64 v[7:8], 2, v[1:2]
	v_add_u32_e32 v1, s5, v9
	v_ashrrev_i32_e32 v2, 31, v1
	v_lshlrev_b64 v[10:11], 2, v[1:2]
	s_waitcnt lgkmcnt(0)
	v_mov_b32_e32 v1, s11
	v_add_co_u32_e32 v5, vcc, s10, v10
	v_addc_co_u32_e32 v6, vcc, v1, v11, vcc
	v_mov_b32_e32 v2, s9
	v_add_co_u32_e32 v1, vcc, s8, v7
	v_addc_co_u32_e32 v2, vcc, v2, v8, vcc
	global_load_dword v18, v[1:2], off
	global_load_dword v19, v[5:6], off
	v_mov_b32_e32 v1, s11
	v_add_co_u32_e32 v12, vcc, s10, v7
	v_addc_co_u32_e32 v13, vcc, v1, v8, vcc
	v_mov_b32_e32 v2, s7
	v_add_co_u32_e32 v1, vcc, s6, v7
	v_addc_co_u32_e32 v2, vcc, v2, v8, vcc
	;; [unrolled: 3-line block ×4, first 2 shown]
	global_load_dword v20, v[12:13], off
	global_load_dword v21, v[14:15], off
	;; [unrolled: 1-line block ×4, first 2 shown]
	s_mov_b32 s0, 0xf800000
	v_mov_b32_e32 v26, 0x260
	v_mov_b32_e32 v25, s13
	;; [unrolled: 1-line block ×3, first 2 shown]
	v_add_co_u32_e64 v10, s[2:3], s14, v10
	v_addc_co_u32_e64 v11, s[2:3], v24, v11, s[2:3]
	global_load_dword v31, v[10:11], off
	s_sub_i32 s2, s5, s18
	s_waitcnt vmcnt(6)
	v_mul_f32_e32 v16, v18, v18
	s_waitcnt vmcnt(5)
	v_fmac_f32_e32 v16, v19, v19
	v_mul_f32_e32 v17, 0x4f800000, v16
	v_cmp_gt_f32_e32 vcc, s0, v16
	v_cndmask_b32_e32 v16, v16, v17, vcc
	v_sqrt_f32_e32 v17, v16
	v_add_u32_e32 v27, -1, v17
	v_add_u32_e32 v28, 1, v17
	v_fma_f32 v29, -v27, v17, v16
	v_fma_f32 v30, -v28, v17, v16
	v_cmp_ge_f32_e64 s[0:1], 0, v29
	v_cndmask_b32_e64 v17, v17, v27, s[0:1]
	v_cmp_lt_f32_e64 s[0:1], 0, v30
	v_cndmask_b32_e64 v17, v17, v28, s[0:1]
	v_mul_f32_e32 v27, 0x37800000, v17
	v_cndmask_b32_e32 v17, v17, v27, vcc
	v_cmp_class_f32_e32 vcc, v16, v26
	v_cndmask_b32_e32 v26, v17, v16, vcc
	v_div_scale_f32 v27, s[0:1], v26, v26, v19
	v_div_scale_f32 v28, s[0:1], v26, v26, v18
	v_add_co_u32_e32 v16, vcc, s12, v7
	v_addc_co_u32_e32 v17, vcc, v25, v8, vcc
	global_load_dword v29, v[16:17], off
	v_div_scale_f32 v25, vcc, v19, v26, v19
	v_div_scale_f32 v30, s[0:1], v18, v26, v18
	v_rcp_f32_e32 v24, v27
	v_rcp_f32_e32 v32, v28
	v_fma_f32 v33, -v27, v24, 1.0
	v_fmac_f32_e32 v24, v33, v24
	v_fma_f32 v34, -v28, v32, 1.0
	v_fmac_f32_e32 v32, v34, v32
	v_mul_f32_e32 v33, v25, v24
	v_fma_f32 v35, -v27, v33, v25
	v_mul_f32_e32 v34, v30, v32
	v_fma_f32 v36, -v28, v34, v30
	v_fmac_f32_e32 v33, v35, v24
	v_fmac_f32_e32 v34, v36, v32
	v_fma_f32 v25, -v27, v33, v25
	v_fma_f32 v27, -v28, v34, v30
	v_div_fmas_f32 v24, v25, v24, v33
	s_mov_b64 vcc, s[0:1]
	v_div_fmas_f32 v25, v27, v32, v34
	v_mov_b32_e32 v33, s15
	v_div_fixup_f32 v27, v24, v26, v19
	s_waitcnt vmcnt(5)
	v_mul_f32_e32 v24, v20, v27
	v_div_fixup_f32 v26, v25, v26, v18
	s_waitcnt vmcnt(3)
	v_mul_f32_e32 v25, v27, v22
	v_fma_f32 v24, -v21, v26, v24
	s_waitcnt vmcnt(2)
	v_fma_f32 v25, -v23, v26, v25
	v_div_scale_f32 v28, s[0:1], v24, v24, v25
	v_div_scale_f32 v30, vcc, v25, v24, v25
	v_mul_f32_e32 v20, v20, v26
	v_mul_f32_e32 v18, v18, v26
	;; [unrolled: 1-line block ×3, first 2 shown]
	v_fmac_f32_e32 v20, v21, v27
	v_fmac_f32_e32 v18, v19, v27
	v_fmac_f32_e32 v22, v23, v27
	s_mul_i32 s0, s17, s24
	v_mov_b32_e32 v23, s13
	v_mov_b32_e32 v21, s7
	v_rcp_f32_e32 v32, v28
	v_fma_f32 v34, -v28, v32, 1.0
	v_fmac_f32_e32 v32, v34, v32
	v_mul_f32_e32 v34, v30, v32
	v_fma_f32 v35, -v28, v34, v30
	v_fmac_f32_e32 v34, v35, v32
	v_fma_f32 v28, -v28, v34, v30
	v_div_fmas_f32 v28, v28, v32, v34
	v_add_co_u32_e32 v7, vcc, s14, v7
	v_addc_co_u32_e32 v8, vcc, v33, v8, vcc
	global_load_dword v30, v[7:8], off
	s_waitcnt vmcnt(1)
	v_mul_f32_e32 v32, v29, v27
	v_fma_f32 v32, -v31, v26, v32
	global_store_dword v[14:15], v20, off
	global_store_dword v[16:17], v32, off
	;; [unrolled: 1-line block ×4, first 2 shown]
	global_load_dword v16, v[14:15], off
	v_mov_b32_e32 v15, s21
	global_store_dword v[12:13], v24, off
	v_mov_b32_e32 v20, s21
	v_mul_f32_e32 v29, v29, v26
	v_fmac_f32_e32 v29, v31, v27
	v_div_fixup_f32 v17, v28, v24, v25
	global_store_dword v[1:2], v17, off
	global_load_dword v18, v[3:4], off
	global_load_dword v28, v[5:6], off
	v_add_u32_e32 v5, s0, v9
	v_ashrrev_i32_e32 v6, 31, v5
	v_lshlrev_b64 v[12:13], 2, v[5:6]
	v_add_u32_e32 v5, s17, v5
	v_add_co_u32_e32 v14, vcc, s20, v12
	v_addc_co_u32_e32 v15, vcc, v15, v13, vcc
	global_load_dword v32, v[14:15], off
	v_ashrrev_i32_e32 v6, 31, v5
	v_mov_b32_e32 v25, s15
	s_waitcnt vmcnt(10)
	v_mul_f32_e32 v31, v27, v30
	s_waitcnt vmcnt(2)
	v_fma_f32 v33, -v17, v16, v18
	s_waitcnt vmcnt(1)
	v_div_scale_f32 v22, s[0:1], v28, v28, v33
	v_div_scale_f32 v24, vcc, v33, v28, v33
	v_lshlrev_b64 v[16:17], 2, v[5:6]
	v_add_u32_e32 v18, s2, v9
	v_ashrrev_i32_e32 v19, 31, v18
	v_lshlrev_b64 v[18:19], 2, v[18:19]
	v_add_co_u32_e64 v16, s[0:1], s20, v16
	v_addc_co_u32_e64 v17, s[0:1], v20, v17, s[0:1]
	v_add_co_u32_e64 v20, s[0:1], s6, v18
	v_addc_co_u32_e64 v21, s[0:1], v21, v19, s[0:1]
	v_rcp_f32_e32 v6, v22
	v_fma_f32 v34, -v22, v6, 1.0
	v_fmac_f32_e32 v6, v34, v6
	v_mul_f32_e32 v34, v24, v6
	v_fma_f32 v35, -v22, v34, v24
	v_fmac_f32_e32 v34, v35, v6
	v_fma_f32 v22, -v22, v34, v24
	v_div_fmas_f32 v6, v22, v6, v34
	v_add_co_u32_e32 v22, vcc, s12, v18
	v_addc_co_u32_e32 v23, vcc, v23, v19, vcc
	v_add_co_u32_e32 v24, vcc, s14, v18
	v_addc_co_u32_e32 v25, vcc, v25, v19, vcc
	global_load_dword v34, v[16:17], off
	s_waitcnt vmcnt(1)
	v_fma_f32 v31, -v32, v26, v31
	global_store_dword v[10:11], v29, off
	global_store_dword v[7:8], v31, off
	v_mov_b32_e32 v35, s11
	global_load_dword v8, v[22:23], off
	global_load_dword v10, v[24:25], off
	v_mov_b32_e32 v25, s21
	v_mov_b32_e32 v29, s11
	v_div_fixup_f32 v11, v6, v28, v33
	global_store_dword v[3:4], v11, off
	v_add_co_u32_e32 v6, vcc, s10, v18
	global_load_dword v22, v[20:21], off
	global_load_dword v23, v[1:2], off
	v_addc_co_u32_e32 v7, vcc, v35, v19, vcc
	global_load_dword v24, v[6:7], off
	v_mov_b32_e32 v18, s7
	v_mov_b32_e32 v28, s15
	;; [unrolled: 1-line block ×3, first 2 shown]
	s_waitcnt vmcnt(2)
	v_fma_f32 v6, -v11, v8, v22
	s_waitcnt vmcnt(1)
	v_fma_f32 v11, -v10, v23, v6
	v_mad_u64_u32 v[5:6], s[0:1], s17, -3, v[5:6]
	s_waitcnt vmcnt(0)
	v_div_scale_f32 v22, s[0:1], v24, v24, v11
	v_div_scale_f32 v23, vcc, v11, v24, v11
	s_sub_i32 s0, s2, s18
	v_add_u32_e32 v6, s0, v9
	v_ashrrev_i32_e32 v7, 31, v6
	v_lshlrev_b64 v[7:8], 2, v[6:7]
	v_ashrrev_i32_e32 v6, 31, v5
	v_lshlrev_b64 v[5:6], 2, v[5:6]
	v_add_co_u32_e64 v9, s[0:1], s6, v7
	v_addc_co_u32_e64 v10, s[0:1], v18, v8, s[0:1]
	v_add_co_u32_e64 v18, s[0:1], s12, v7
	v_rcp_f32_e32 v31, v22
	v_addc_co_u32_e64 v19, s[0:1], v19, v8, s[0:1]
	s_cmp_lt_i32 s16, 5
	v_fma_f32 v33, -v22, v31, 1.0
	v_fmac_f32_e32 v31, v33, v31
	v_mul_f32_e32 v33, v23, v31
	v_fma_f32 v35, -v22, v33, v23
	v_fmac_f32_e32 v33, v35, v31
	v_fma_f32 v22, -v22, v33, v23
	v_div_fmas_f32 v31, v22, v31, v33
	v_add_co_u32_e32 v22, vcc, s14, v7
	v_addc_co_u32_e32 v23, vcc, v28, v8, vcc
	v_mul_f32_e32 v28, v26, v30
	v_add_co_u32_e32 v5, vcc, s20, v5
	v_fmac_f32_e32 v28, v32, v27
	v_addc_co_u32_e32 v6, vcc, v25, v6, vcc
	v_mul_f32_e32 v25, v27, v34
	global_store_dword v[14:15], v28, off
	global_store_dword v[16:17], v25, off
	global_load_dword v14, v[18:19], off
	s_nop 0
	global_load_dword v15, v[22:23], off
	global_load_dword v16, v[5:6], off
	v_div_fixup_f32 v5, v31, v24, v11
	global_store_dword v[20:21], v5, off
	global_load_dword v6, v[9:10], off
	global_load_dword v11, v[3:4], off
	;; [unrolled: 1-line block ×3, first 2 shown]
	v_add_co_u32_e32 v1, vcc, s10, v7
	v_addc_co_u32_e32 v2, vcc, v29, v8, vcc
	global_load_dword v3, v[1:2], off
	s_waitcnt vmcnt(3)
	v_fma_f32 v1, -v5, v14, v6
	s_waitcnt vmcnt(2)
	v_fma_f32 v1, -v15, v11, v1
	;; [unrolled: 2-line block ×3, first 2 shown]
	s_waitcnt vmcnt(0)
	v_div_scale_f32 v1, s[0:1], v3, v3, v4
	v_div_scale_f32 v2, vcc, v4, v3, v4
	v_rcp_f32_e32 v5, v1
	v_fma_f32 v6, -v1, v5, 1.0
	v_fmac_f32_e32 v5, v6, v5
	v_mul_f32_e32 v6, v2, v5
	v_fma_f32 v7, -v1, v6, v2
	v_fmac_f32_e32 v6, v7, v5
	v_fma_f32 v1, -v1, v6, v2
	v_div_fmas_f32 v5, v1, v5, v6
	v_mov_b32_e32 v2, s23
	v_add_co_u32_e32 v1, vcc, s22, v12
	v_addc_co_u32_e32 v2, vcc, v2, v13, vcc
	v_mul_f32_e32 v6, v26, v34
	global_store_dword v[1:2], v6, off
	v_div_fixup_f32 v1, v5, v3, v4
	global_store_dword v[9:10], v1, off
	s_cbranch_scc1 .LBB2_7
; %bb.5:
	s_add_i32 s1, s16, -5
	s_add_i32 s0, s16, -4
	s_mul_i32 s2, s17, s1
	v_add_u32_e32 v1, s2, v0
	s_mul_i32 s2, s18, s0
	v_add_u32_e32 v2, s2, v0
	s_add_i32 s2, s16, -3
	s_mul_i32 s2, s18, s2
	v_add_u32_e32 v3, s2, v0
	s_mul_i32 s2, s18, s24
	s_mul_i32 s1, s18, s1
	v_add_u32_e32 v4, s2, v0
	v_add_u32_e32 v5, s4, v0
	;; [unrolled: 1-line block ×3, first 2 shown]
.LBB2_6:                                ; =>This Inner Loop Header: Depth=1
	v_add_u32_e32 v6, s19, v0
	v_ashrrev_i32_e32 v7, 31, v6
	v_lshlrev_b64 v[6:7], 2, v[6:7]
	v_mov_b32_e32 v26, s7
	v_add_u32_e32 v8, s19, v2
	v_add_co_u32_e32 v18, vcc, s6, v6
	v_ashrrev_i32_e32 v9, 31, v8
	v_addc_co_u32_e32 v19, vcc, v26, v7, vcc
	v_mov_b32_e32 v21, s13
	v_lshlrev_b64 v[8:9], 2, v[8:9]
	v_add_co_u32_e32 v20, vcc, s12, v6
	v_addc_co_u32_e32 v21, vcc, v21, v7, vcc
	v_add_u32_e32 v10, s19, v3
	v_add_co_u32_e32 v8, vcc, s6, v8
	v_ashrrev_i32_e32 v11, 31, v10
	v_addc_co_u32_e32 v9, vcc, v26, v9, vcc
	v_mov_b32_e32 v23, s15
	v_add_u32_e32 v12, s19, v1
	v_lshlrev_b64 v[10:11], 2, v[10:11]
	v_add_co_u32_e32 v22, vcc, s14, v6
	v_ashrrev_i32_e32 v13, 31, v12
	v_addc_co_u32_e32 v23, vcc, v23, v7, vcc
	v_add_u32_e32 v14, s19, v4
	v_lshlrev_b64 v[12:13], 2, v[12:13]
	v_add_co_u32_e32 v10, vcc, s6, v10
	v_ashrrev_i32_e32 v15, 31, v14
	v_addc_co_u32_e32 v11, vcc, v26, v11, vcc
	v_mov_b32_e32 v25, s21
	v_lshlrev_b64 v[14:15], 2, v[14:15]
	v_add_co_u32_e32 v24, vcc, s20, v12
	v_addc_co_u32_e32 v25, vcc, v25, v13, vcc
	v_add_u32_e32 v16, s19, v5
	v_add_co_u32_e32 v14, vcc, s6, v14
	v_ashrrev_i32_e32 v17, 31, v16
	v_addc_co_u32_e32 v15, vcc, v26, v15, vcc
	v_mov_b32_e32 v27, s23
	v_lshlrev_b64 v[16:17], 2, v[16:17]
	v_add_co_u32_e32 v12, vcc, s22, v12
	v_addc_co_u32_e32 v13, vcc, v27, v13, vcc
	v_add_co_u32_e32 v16, vcc, s6, v16
	v_addc_co_u32_e32 v17, vcc, v26, v17, vcc
	v_mov_b32_e32 v28, s11
	v_add_co_u32_e32 v6, vcc, s10, v6
	v_addc_co_u32_e32 v7, vcc, v28, v7, vcc
	global_load_dword v26, v[18:19], off
	global_load_dword v27, v[20:21], off
	;; [unrolled: 1-line block ×10, first 2 shown]
	s_add_i32 s0, s0, -1
	v_subrev_u32_e32 v1, s17, v1
	v_subrev_u32_e32 v2, s18, v2
	;; [unrolled: 1-line block ×6, first 2 shown]
	s_cmp_lg_u32 s0, 0
	s_waitcnt vmcnt(7)
	v_fma_f32 v6, -v27, v28, v26
	s_waitcnt vmcnt(5)
	v_fma_f32 v6, -v29, v30, v6
	;; [unrolled: 2-line block ×4, first 2 shown]
	s_waitcnt vmcnt(0)
	v_div_scale_f32 v7, s[2:3], v35, v35, v6
	v_div_scale_f32 v8, vcc, v6, v35, v6
	v_rcp_f32_e32 v9, v7
	v_fma_f32 v10, -v7, v9, 1.0
	v_fmac_f32_e32 v9, v10, v9
	v_mul_f32_e32 v10, v8, v9
	v_fma_f32 v11, -v7, v10, v8
	v_fmac_f32_e32 v10, v11, v9
	v_fma_f32 v7, -v7, v10, v8
	v_div_fmas_f32 v7, v7, v9, v10
	v_div_fixup_f32 v6, v7, v35, v6
	global_store_dword v[18:19], v6, off
	s_cbranch_scc1 .LBB2_6
.LBB2_7:
	s_endpgm
	.section	.rodata,"a",@progbits
	.p2align	6, 0x0
	.amdhsa_kernel _ZN9rocsparseL39gpsv_interleaved_batch_givens_qr_kernelILj128EfEEviiiPT0_S2_S2_S2_S2_S2_S2_S2_
		.amdhsa_group_segment_fixed_size 0
		.amdhsa_private_segment_fixed_size 0
		.amdhsa_kernarg_size 80
		.amdhsa_user_sgpr_count 6
		.amdhsa_user_sgpr_private_segment_buffer 1
		.amdhsa_user_sgpr_dispatch_ptr 0
		.amdhsa_user_sgpr_queue_ptr 0
		.amdhsa_user_sgpr_kernarg_segment_ptr 1
		.amdhsa_user_sgpr_dispatch_id 0
		.amdhsa_user_sgpr_flat_scratch_init 0
		.amdhsa_user_sgpr_private_segment_size 0
		.amdhsa_uses_dynamic_stack 0
		.amdhsa_system_sgpr_private_segment_wavefront_offset 0
		.amdhsa_system_sgpr_workgroup_id_x 1
		.amdhsa_system_sgpr_workgroup_id_y 0
		.amdhsa_system_sgpr_workgroup_id_z 0
		.amdhsa_system_sgpr_workgroup_info 0
		.amdhsa_system_vgpr_workitem_id 0
		.amdhsa_next_free_vgpr 40
		.amdhsa_next_free_sgpr 27
		.amdhsa_reserve_vcc 1
		.amdhsa_reserve_flat_scratch 0
		.amdhsa_float_round_mode_32 0
		.amdhsa_float_round_mode_16_64 0
		.amdhsa_float_denorm_mode_32 3
		.amdhsa_float_denorm_mode_16_64 3
		.amdhsa_dx10_clamp 1
		.amdhsa_ieee_mode 1
		.amdhsa_fp16_overflow 0
		.amdhsa_exception_fp_ieee_invalid_op 0
		.amdhsa_exception_fp_denorm_src 0
		.amdhsa_exception_fp_ieee_div_zero 0
		.amdhsa_exception_fp_ieee_overflow 0
		.amdhsa_exception_fp_ieee_underflow 0
		.amdhsa_exception_fp_ieee_inexact 0
		.amdhsa_exception_int_div_zero 0
	.end_amdhsa_kernel
	.section	.text._ZN9rocsparseL39gpsv_interleaved_batch_givens_qr_kernelILj128EfEEviiiPT0_S2_S2_S2_S2_S2_S2_S2_,"axG",@progbits,_ZN9rocsparseL39gpsv_interleaved_batch_givens_qr_kernelILj128EfEEviiiPT0_S2_S2_S2_S2_S2_S2_S2_,comdat
.Lfunc_end2:
	.size	_ZN9rocsparseL39gpsv_interleaved_batch_givens_qr_kernelILj128EfEEviiiPT0_S2_S2_S2_S2_S2_S2_S2_, .Lfunc_end2-_ZN9rocsparseL39gpsv_interleaved_batch_givens_qr_kernelILj128EfEEviiiPT0_S2_S2_S2_S2_S2_S2_S2_
                                        ; -- End function
	.set _ZN9rocsparseL39gpsv_interleaved_batch_givens_qr_kernelILj128EfEEviiiPT0_S2_S2_S2_S2_S2_S2_S2_.num_vgpr, 40
	.set _ZN9rocsparseL39gpsv_interleaved_batch_givens_qr_kernelILj128EfEEviiiPT0_S2_S2_S2_S2_S2_S2_S2_.num_agpr, 0
	.set _ZN9rocsparseL39gpsv_interleaved_batch_givens_qr_kernelILj128EfEEviiiPT0_S2_S2_S2_S2_S2_S2_S2_.numbered_sgpr, 27
	.set _ZN9rocsparseL39gpsv_interleaved_batch_givens_qr_kernelILj128EfEEviiiPT0_S2_S2_S2_S2_S2_S2_S2_.num_named_barrier, 0
	.set _ZN9rocsparseL39gpsv_interleaved_batch_givens_qr_kernelILj128EfEEviiiPT0_S2_S2_S2_S2_S2_S2_S2_.private_seg_size, 0
	.set _ZN9rocsparseL39gpsv_interleaved_batch_givens_qr_kernelILj128EfEEviiiPT0_S2_S2_S2_S2_S2_S2_S2_.uses_vcc, 1
	.set _ZN9rocsparseL39gpsv_interleaved_batch_givens_qr_kernelILj128EfEEviiiPT0_S2_S2_S2_S2_S2_S2_S2_.uses_flat_scratch, 0
	.set _ZN9rocsparseL39gpsv_interleaved_batch_givens_qr_kernelILj128EfEEviiiPT0_S2_S2_S2_S2_S2_S2_S2_.has_dyn_sized_stack, 0
	.set _ZN9rocsparseL39gpsv_interleaved_batch_givens_qr_kernelILj128EfEEviiiPT0_S2_S2_S2_S2_S2_S2_S2_.has_recursion, 0
	.set _ZN9rocsparseL39gpsv_interleaved_batch_givens_qr_kernelILj128EfEEviiiPT0_S2_S2_S2_S2_S2_S2_S2_.has_indirect_call, 0
	.section	.AMDGPU.csdata,"",@progbits
; Kernel info:
; codeLenInByte = 3508
; TotalNumSgprs: 31
; NumVgprs: 40
; ScratchSize: 0
; MemoryBound: 0
; FloatMode: 240
; IeeeMode: 1
; LDSByteSize: 0 bytes/workgroup (compile time only)
; SGPRBlocks: 3
; VGPRBlocks: 9
; NumSGPRsForWavesPerEU: 31
; NumVGPRsForWavesPerEU: 40
; Occupancy: 6
; WaveLimiterHint : 0
; COMPUTE_PGM_RSRC2:SCRATCH_EN: 0
; COMPUTE_PGM_RSRC2:USER_SGPR: 6
; COMPUTE_PGM_RSRC2:TRAP_HANDLER: 0
; COMPUTE_PGM_RSRC2:TGID_X_EN: 1
; COMPUTE_PGM_RSRC2:TGID_Y_EN: 0
; COMPUTE_PGM_RSRC2:TGID_Z_EN: 0
; COMPUTE_PGM_RSRC2:TIDIG_COMP_CNT: 0
	.section	.text._ZN9rocsparseL19gpsv_strided_gatherILj256EdEEviiiPKT0_PS1_,"axG",@progbits,_ZN9rocsparseL19gpsv_strided_gatherILj256EdEEviiiPKT0_PS1_,comdat
	.globl	_ZN9rocsparseL19gpsv_strided_gatherILj256EdEEviiiPKT0_PS1_ ; -- Begin function _ZN9rocsparseL19gpsv_strided_gatherILj256EdEEviiiPKT0_PS1_
	.p2align	8
	.type	_ZN9rocsparseL19gpsv_strided_gatherILj256EdEEviiiPKT0_PS1_,@function
_ZN9rocsparseL19gpsv_strided_gatherILj256EdEEviiiPKT0_PS1_: ; @_ZN9rocsparseL19gpsv_strided_gatherILj256EdEEviiiPKT0_PS1_
; %bb.0:
	s_load_dword s7, s[4:5], 0x2c
	s_load_dwordx4 s[0:3], s[4:5], 0x0
	s_waitcnt lgkmcnt(0)
	s_and_b32 s3, s7, 0xffff
	s_mul_i32 s6, s6, s3
	s_cmp_gt_i32 s0, 0
	v_add_u32_e32 v0, s6, v0
	v_cmp_gt_i32_e32 vcc, s1, v0
	s_cselect_b64 s[6:7], -1, 0
	s_and_b64 s[6:7], vcc, s[6:7]
	s_and_saveexec_b64 s[8:9], s[6:7]
	s_cbranch_execz .LBB3_3
; %bb.1:
	s_load_dwordx4 s[4:7], s[4:5], 0x10
	v_mov_b32_e32 v2, v0
	s_waitcnt lgkmcnt(0)
	v_mov_b32_e32 v4, s5
	v_mov_b32_e32 v5, s7
.LBB3_2:                                ; =>This Inner Loop Header: Depth=1
	v_ashrrev_i32_e32 v1, 31, v0
	v_lshlrev_b64 v[6:7], 3, v[0:1]
	v_ashrrev_i32_e32 v3, 31, v2
	v_add_co_u32_e32 v6, vcc, s4, v6
	v_addc_co_u32_e32 v7, vcc, v4, v7, vcc
	global_load_dwordx2 v[6:7], v[6:7], off
	v_lshlrev_b64 v[8:9], 3, v[2:3]
	s_add_i32 s0, s0, -1
	v_add_co_u32_e32 v8, vcc, s6, v8
	v_add_u32_e32 v2, s1, v2
	s_cmp_lg_u32 s0, 0
	v_addc_co_u32_e32 v9, vcc, v5, v9, vcc
	v_add_u32_e32 v0, s2, v0
	s_waitcnt vmcnt(0)
	global_store_dwordx2 v[8:9], v[6:7], off
	s_cbranch_scc1 .LBB3_2
.LBB3_3:
	s_endpgm
	.section	.rodata,"a",@progbits
	.p2align	6, 0x0
	.amdhsa_kernel _ZN9rocsparseL19gpsv_strided_gatherILj256EdEEviiiPKT0_PS1_
		.amdhsa_group_segment_fixed_size 0
		.amdhsa_private_segment_fixed_size 0
		.amdhsa_kernarg_size 288
		.amdhsa_user_sgpr_count 6
		.amdhsa_user_sgpr_private_segment_buffer 1
		.amdhsa_user_sgpr_dispatch_ptr 0
		.amdhsa_user_sgpr_queue_ptr 0
		.amdhsa_user_sgpr_kernarg_segment_ptr 1
		.amdhsa_user_sgpr_dispatch_id 0
		.amdhsa_user_sgpr_flat_scratch_init 0
		.amdhsa_user_sgpr_private_segment_size 0
		.amdhsa_uses_dynamic_stack 0
		.amdhsa_system_sgpr_private_segment_wavefront_offset 0
		.amdhsa_system_sgpr_workgroup_id_x 1
		.amdhsa_system_sgpr_workgroup_id_y 0
		.amdhsa_system_sgpr_workgroup_id_z 0
		.amdhsa_system_sgpr_workgroup_info 0
		.amdhsa_system_vgpr_workitem_id 0
		.amdhsa_next_free_vgpr 10
		.amdhsa_next_free_sgpr 10
		.amdhsa_reserve_vcc 1
		.amdhsa_reserve_flat_scratch 0
		.amdhsa_float_round_mode_32 0
		.amdhsa_float_round_mode_16_64 0
		.amdhsa_float_denorm_mode_32 3
		.amdhsa_float_denorm_mode_16_64 3
		.amdhsa_dx10_clamp 1
		.amdhsa_ieee_mode 1
		.amdhsa_fp16_overflow 0
		.amdhsa_exception_fp_ieee_invalid_op 0
		.amdhsa_exception_fp_denorm_src 0
		.amdhsa_exception_fp_ieee_div_zero 0
		.amdhsa_exception_fp_ieee_overflow 0
		.amdhsa_exception_fp_ieee_underflow 0
		.amdhsa_exception_fp_ieee_inexact 0
		.amdhsa_exception_int_div_zero 0
	.end_amdhsa_kernel
	.section	.text._ZN9rocsparseL19gpsv_strided_gatherILj256EdEEviiiPKT0_PS1_,"axG",@progbits,_ZN9rocsparseL19gpsv_strided_gatherILj256EdEEviiiPKT0_PS1_,comdat
.Lfunc_end3:
	.size	_ZN9rocsparseL19gpsv_strided_gatherILj256EdEEviiiPKT0_PS1_, .Lfunc_end3-_ZN9rocsparseL19gpsv_strided_gatherILj256EdEEviiiPKT0_PS1_
                                        ; -- End function
	.set _ZN9rocsparseL19gpsv_strided_gatherILj256EdEEviiiPKT0_PS1_.num_vgpr, 10
	.set _ZN9rocsparseL19gpsv_strided_gatherILj256EdEEviiiPKT0_PS1_.num_agpr, 0
	.set _ZN9rocsparseL19gpsv_strided_gatherILj256EdEEviiiPKT0_PS1_.numbered_sgpr, 10
	.set _ZN9rocsparseL19gpsv_strided_gatherILj256EdEEviiiPKT0_PS1_.num_named_barrier, 0
	.set _ZN9rocsparseL19gpsv_strided_gatherILj256EdEEviiiPKT0_PS1_.private_seg_size, 0
	.set _ZN9rocsparseL19gpsv_strided_gatherILj256EdEEviiiPKT0_PS1_.uses_vcc, 1
	.set _ZN9rocsparseL19gpsv_strided_gatherILj256EdEEviiiPKT0_PS1_.uses_flat_scratch, 0
	.set _ZN9rocsparseL19gpsv_strided_gatherILj256EdEEviiiPKT0_PS1_.has_dyn_sized_stack, 0
	.set _ZN9rocsparseL19gpsv_strided_gatherILj256EdEEviiiPKT0_PS1_.has_recursion, 0
	.set _ZN9rocsparseL19gpsv_strided_gatherILj256EdEEviiiPKT0_PS1_.has_indirect_call, 0
	.section	.AMDGPU.csdata,"",@progbits
; Kernel info:
; codeLenInByte = 168
; TotalNumSgprs: 14
; NumVgprs: 10
; ScratchSize: 0
; MemoryBound: 0
; FloatMode: 240
; IeeeMode: 1
; LDSByteSize: 0 bytes/workgroup (compile time only)
; SGPRBlocks: 1
; VGPRBlocks: 2
; NumSGPRsForWavesPerEU: 14
; NumVGPRsForWavesPerEU: 10
; Occupancy: 10
; WaveLimiterHint : 0
; COMPUTE_PGM_RSRC2:SCRATCH_EN: 0
; COMPUTE_PGM_RSRC2:USER_SGPR: 6
; COMPUTE_PGM_RSRC2:TRAP_HANDLER: 0
; COMPUTE_PGM_RSRC2:TGID_X_EN: 1
; COMPUTE_PGM_RSRC2:TGID_Y_EN: 0
; COMPUTE_PGM_RSRC2:TGID_Z_EN: 0
; COMPUTE_PGM_RSRC2:TIDIG_COMP_CNT: 0
	.section	.text._ZN9rocsparseL44gpsv_interleaved_batch_householder_qr_kernelILj256EdEEviiiPT0_S2_S2_S2_S2_S2_S2_S2_S2_,"axG",@progbits,_ZN9rocsparseL44gpsv_interleaved_batch_householder_qr_kernelILj256EdEEviiiPT0_S2_S2_S2_S2_S2_S2_S2_S2_,comdat
	.globl	_ZN9rocsparseL44gpsv_interleaved_batch_householder_qr_kernelILj256EdEEviiiPT0_S2_S2_S2_S2_S2_S2_S2_S2_ ; -- Begin function _ZN9rocsparseL44gpsv_interleaved_batch_householder_qr_kernelILj256EdEEviiiPT0_S2_S2_S2_S2_S2_S2_S2_S2_
	.p2align	8
	.type	_ZN9rocsparseL44gpsv_interleaved_batch_householder_qr_kernelILj256EdEEviiiPT0_S2_S2_S2_S2_S2_S2_S2_S2_,@function
_ZN9rocsparseL44gpsv_interleaved_batch_householder_qr_kernelILj256EdEEviiiPT0_S2_S2_S2_S2_S2_S2_S2_S2_: ; @_ZN9rocsparseL44gpsv_interleaved_batch_householder_qr_kernelILj256EdEEviiiPT0_S2_S2_S2_S2_S2_S2_S2_S2_
; %bb.0:
	s_load_dword s0, s[4:5], 0x64
	s_load_dwordx4 s[12:15], s[4:5], 0x0
	s_waitcnt lgkmcnt(0)
	s_and_b32 s0, s0, 0xffff
	s_mul_i32 s15, s6, s0
	v_add_u32_e32 v15, s15, v0
	v_cmp_gt_i32_e32 vcc, s13, v15
	s_and_saveexec_b64 s[0:1], vcc
	s_cbranch_execz .LBB4_24
; %bb.1:
	s_load_dwordx2 s[10:11], s[4:5], 0x50
	s_load_dwordx4 s[16:19], s[4:5], 0x40
	s_load_dwordx4 s[20:23], s[4:5], 0x20
	s_load_dwordx2 s[24:25], s[4:5], 0x30
	s_cmp_lt_i32 s12, 2
	s_cbranch_scc1 .LBB4_11
; %bb.2:
	s_load_dwordx2 s[26:27], s[4:5], 0x18
	s_add_i32 s33, s12, -2
	s_cmp_eq_u32 s33, 0
	s_mov_b32 s0, 0
	s_cbranch_scc1 .LBB4_8
; %bb.3:
	s_load_dwordx2 s[28:29], s[4:5], 0x10
	s_mov_b32 s30, 0
	v_add_u32_e32 v16, s13, v0
	v_lshl_add_u32 v17, s13, 1, v0
	v_lshl_add_u32 v18, s14, 1, v0
	v_add_u32_e32 v19, s14, v0
	s_mov_b32 s36, 0
	s_waitcnt lgkmcnt(0)
	v_mov_b32_e32 v20, s27
	v_mov_b32_e32 v21, s29
	s_brev_b32 s31, 8
	v_mov_b32_e32 v22, 0x260
	v_mov_b32_e32 v23, 0x100
	;; [unrolled: 1-line block ×5, first 2 shown]
	s_branch .LBB4_5
.LBB4_4:                                ;   in Loop: Header=BB4_5 Depth=1
	s_or_b64 exec, exec, s[34:35]
	s_add_i32 s36, s36, 1
	v_add_u32_e32 v26, s13, v26
	v_add_u32_e32 v16, s13, v16
	;; [unrolled: 1-line block ×5, first 2 shown]
	s_cmp_eq_u32 s33, s36
	v_add_u32_e32 v25, s14, v25
	s_cbranch_scc1 .LBB4_7
.LBB4_5:                                ; =>This Inner Loop Header: Depth=1
	v_add_u32_e32 v1, s15, v18
	v_ashrrev_i32_e32 v2, 31, v1
	v_lshlrev_b64 v[11:12], 3, v[1:2]
	v_add_u32_e32 v3, s15, v19
	v_add_co_u32_e32 v1, vcc, s28, v11
	v_addc_co_u32_e32 v2, vcc, v21, v12, vcc
	global_load_dwordx2 v[5:6], v[1:2], off
	v_ashrrev_i32_e32 v4, 31, v3
	v_lshlrev_b64 v[9:10], 3, v[3:4]
	v_add_co_u32_e32 v3, vcc, s26, v9
	v_addc_co_u32_e32 v4, vcc, v20, v10, vcc
	global_load_dwordx2 v[7:8], v[3:4], off
	s_waitcnt vmcnt(1)
	v_mul_f64 v[13:14], v[5:6], v[5:6]
	s_waitcnt vmcnt(0)
	v_fma_f64 v[13:14], v[7:8], v[7:8], v[13:14]
	v_cmp_neq_f64_e32 vcc, 0, v[13:14]
	s_and_saveexec_b64 s[34:35], vcc
	s_cbranch_execz .LBB4_4
; %bb.6:                                ;   in Loop: Header=BB4_5 Depth=1
	v_add_u32_e32 v27, s15, v25
	v_ashrrev_i32_e32 v28, 31, v27
	v_lshlrev_b64 v[27:28], 3, v[27:28]
	v_mov_b32_e32 v30, s21
	v_add_co_u32_e32 v29, vcc, s20, v27
	v_addc_co_u32_e32 v30, vcc, v30, v28, vcc
	global_load_dwordx2 v[31:32], v[29:30], off
	v_add_u32_e32 v59, s15, v16
	v_ashrrev_i32_e32 v60, 31, v59
	v_lshlrev_b64 v[59:60], 3, v[59:60]
	v_mov_b32_e32 v62, s17
	s_waitcnt vmcnt(0)
	v_fma_f64 v[33:34], v[31:32], v[31:32], v[13:14]
	v_cmp_lt_f64_e64 s[0:1], 0, v[31:32]
	v_cmp_gt_f64_e32 vcc, s[30:31], v[33:34]
	v_cndmask_b32_e32 v35, 0, v23, vcc
	v_ldexp_f64 v[33:34], v[33:34], v35
	v_rsq_f64_e32 v[35:36], v[33:34]
	v_mul_f64 v[37:38], v[33:34], v[35:36]
	v_mul_f64 v[35:36], v[35:36], 0.5
	v_fma_f64 v[39:40], -v[35:36], v[37:38], 0.5
	v_fma_f64 v[37:38], v[37:38], v[39:40], v[37:38]
	v_fma_f64 v[35:36], v[35:36], v[39:40], v[35:36]
	v_fma_f64 v[39:40], -v[37:38], v[37:38], v[33:34]
	v_fma_f64 v[37:38], v[39:40], v[35:36], v[37:38]
	v_fma_f64 v[39:40], -v[37:38], v[37:38], v[33:34]
	v_fma_f64 v[35:36], v[39:40], v[35:36], v[37:38]
	v_cndmask_b32_e32 v37, 0, v24, vcc
	v_cmp_class_f64_e32 vcc, v[33:34], v22
	v_ldexp_f64 v[35:36], v[35:36], v37
	v_cndmask_b32_e32 v34, v36, v34, vcc
	v_cndmask_b32_e32 v33, v35, v33, vcc
	v_xor_b32_e32 v35, 0x80000000, v34
	v_cndmask_b32_e64 v34, v35, v34, s[0:1]
	v_add_f64 v[33:34], v[31:32], v[33:34]
	v_mul_f64 v[35:36], v[33:34], v[33:34]
	v_div_scale_f64 v[37:38], s[0:1], v[33:34], v[33:34], v[7:8]
	v_fma_f64 v[13:14], v[33:34], v[33:34], v[13:14]
	v_div_scale_f64 v[39:40], s[0:1], v[33:34], v[33:34], v[5:6]
	v_add_f64 v[35:36], v[35:36], v[35:36]
	v_div_scale_f64 v[41:42], s[0:1], v[13:14], v[13:14], v[35:36]
	v_rcp_f64_e32 v[43:44], v[37:38]
	v_div_scale_f64 v[55:56], s[2:3], v[35:36], v[13:14], v[35:36]
	v_rcp_f64_e32 v[45:46], v[39:40]
	v_rcp_f64_e32 v[47:48], v[41:42]
	v_fma_f64 v[49:50], -v[37:38], v[43:44], 1.0
	v_fma_f64 v[51:52], -v[39:40], v[45:46], 1.0
	v_fma_f64 v[43:44], v[43:44], v[49:50], v[43:44]
	v_div_scale_f64 v[49:50], vcc, v[7:8], v[33:34], v[7:8]
	v_fma_f64 v[45:46], v[45:46], v[51:52], v[45:46]
	v_fma_f64 v[53:54], -v[41:42], v[47:48], 1.0
	v_fma_f64 v[51:52], -v[37:38], v[43:44], 1.0
	v_fma_f64 v[47:48], v[47:48], v[53:54], v[47:48]
	v_fma_f64 v[53:54], -v[39:40], v[45:46], 1.0
	v_fma_f64 v[43:44], v[43:44], v[51:52], v[43:44]
	v_div_scale_f64 v[51:52], s[6:7], v[5:6], v[33:34], v[5:6]
	v_fma_f64 v[57:58], -v[41:42], v[47:48], 1.0
	v_fma_f64 v[45:46], v[45:46], v[53:54], v[45:46]
	v_mul_f64 v[53:54], v[49:50], v[43:44]
	v_fma_f64 v[47:48], v[47:48], v[57:58], v[47:48]
	v_fma_f64 v[37:38], -v[37:38], v[53:54], v[49:50]
	v_mul_f64 v[49:50], v[51:52], v[45:46]
	v_mul_f64 v[57:58], v[55:56], v[47:48]
	v_div_fmas_f64 v[37:38], v[37:38], v[43:44], v[53:54]
	v_fma_f64 v[39:40], -v[39:40], v[49:50], v[51:52]
	s_mov_b64 vcc, s[6:7]
	v_mov_b32_e32 v53, s23
	v_mov_b32_e32 v52, s27
	v_add_co_u32_e64 v51, s[8:9], s26, v11
	v_fma_f64 v[41:42], -v[41:42], v[57:58], v[55:56]
	v_mov_b32_e32 v55, s25
	v_div_fmas_f64 v[39:40], v[39:40], v[45:46], v[49:50]
	s_mov_b64 vcc, s[2:3]
	v_mov_b32_e32 v46, s21
	v_add_co_u32_e64 v45, s[6:7], s20, v11
	v_addc_co_u32_e64 v52, s[8:9], v52, v12, s[8:9]
	v_div_fmas_f64 v[41:42], v[41:42], v[47:48], v[57:58]
	v_add_co_u32_e64 v47, s[2:3], s22, v11
	v_addc_co_u32_e64 v48, s[2:3], v53, v12, s[2:3]
	v_div_fixup_f64 v[37:38], v[37:38], v[33:34], v[7:8]
	v_add_co_u32_e64 v11, s[2:3], s24, v11
	v_addc_co_u32_e64 v46, s[6:7], v46, v12, s[6:7]
	v_addc_co_u32_e64 v12, s[2:3], v55, v12, s[2:3]
	v_mov_b32_e32 v44, s21
	v_add_co_u32_e64 v43, s[0:1], s20, v9
	v_mov_b32_e32 v50, s23
	v_add_co_u32_e32 v49, vcc, s22, v9
	v_mov_b32_e32 v53, s25
	v_add_co_u32_e64 v9, s[2:3], s24, v9
	v_addc_co_u32_e64 v44, s[0:1], v44, v10, s[0:1]
	v_addc_co_u32_e32 v50, vcc, v50, v10, vcc
	v_addc_co_u32_e64 v10, vcc, v53, v10, s[2:3]
	v_mov_b32_e32 v54, s23
	v_add_co_u32_e32 v53, vcc, s22, v27
	v_add_co_u32_e64 v27, s[0:1], s24, v27
	v_addc_co_u32_e32 v54, vcc, v54, v28, vcc
	v_addc_co_u32_e64 v28, vcc, v55, v28, s[0:1]
	global_load_dwordx2 v[55:56], v[43:44], off
	global_load_dwordx2 v[57:58], v[49:50], off
	v_div_fixup_f64 v[33:34], v[39:40], v[33:34], v[5:6]
	global_load_dwordx2 v[39:40], v[53:54], off
	v_fma_f64 v[7:8], v[37:38], v[7:8], v[31:32]
	v_div_fixup_f64 v[13:14], v[41:42], v[13:14], v[35:36]
	global_load_dwordx2 v[35:36], v[27:28], off
	global_load_dwordx2 v[41:42], v[51:52], off
	v_fma_f64 v[5:6], v[33:34], v[5:6], v[7:8]
	global_load_dwordx2 v[7:8], v[45:46], off
	v_fma_f64 v[5:6], -v[5:6], v[13:14], v[31:32]
	global_store_dwordx2 v[29:30], v[5:6], off
	s_waitcnt vmcnt(4)
	v_fma_f64 v[31:32], v[37:38], v[55:56], v[39:40]
	s_waitcnt vmcnt(3)
	v_fma_f64 v[5:6], v[37:38], v[57:58], v[35:36]
	;; [unrolled: 2-line block ×4, first 2 shown]
	v_fma_f64 v[31:32], -v[29:30], v[13:14], v[39:40]
	global_load_dwordx2 v[39:40], v[47:48], off
	v_fma_f64 v[35:36], -v[5:6], v[13:14], v[35:36]
	v_mul_f64 v[29:30], v[29:30], v[13:14]
	v_mul_f64 v[5:6], v[5:6], v[13:14]
	global_store_dwordx2 v[53:54], v[31:32], off
	global_load_dwordx2 v[31:32], v[11:12], off
	s_nop 0
	global_load_dwordx2 v[53:54], v[9:10], off
	s_nop 0
	global_store_dwordx2 v[27:28], v[35:36], off
	v_add_u32_e32 v27, s15, v26
	v_ashrrev_i32_e32 v28, 31, v27
	v_lshlrev_b64 v[27:28], 3, v[27:28]
	v_mov_b32_e32 v36, s17
	v_add_co_u32_e32 v35, vcc, s16, v27
	v_addc_co_u32_e32 v36, vcc, v36, v28, vcc
	global_load_dwordx2 v[63:64], v[35:36], off
	v_add_co_u32_e32 v61, vcc, s16, v59
	v_addc_co_u32_e32 v62, vcc, v62, v60, vcc
	global_load_dwordx2 v[67:68], v[61:62], off
	s_waitcnt vmcnt(1)
	v_fma_f64 v[65:66], v[37:38], v[53:54], v[63:64]
	global_store_dwordx2 v[3:4], v[37:38], off
	global_store_dwordx2 v[1:2], v[33:34], off
	v_fma_f64 v[65:66], v[33:34], v[39:40], v[65:66]
	v_fma_f64 v[63:64], -v[65:66], v[13:14], v[63:64]
	global_store_dwordx2 v[35:36], v[63:64], off
	v_mov_b32_e32 v36, s19
	v_add_co_u32_e32 v35, vcc, s18, v27
	v_addc_co_u32_e32 v36, vcc, v36, v28, vcc
	global_load_dwordx2 v[63:64], v[35:36], off
	s_waitcnt vmcnt(0)
	v_fma_f64 v[67:68], v[37:38], v[67:68], v[63:64]
	v_fma_f64 v[67:68], v[33:34], v[31:32], v[67:68]
	v_fma_f64 v[63:64], -v[67:68], v[13:14], v[63:64]
	global_store_dwordx2 v[35:36], v[63:64], off
	v_fma_f64 v[35:36], -v[29:30], v[37:38], v[55:56]
	v_fma_f64 v[29:30], -v[29:30], v[33:34], v[41:42]
	global_load_dwordx2 v[41:42], v[61:62], off
	s_nop 0
	global_store_dwordx2 v[43:44], v[35:36], off
	v_fma_f64 v[35:36], -v[5:6], v[37:38], v[57:58]
	v_fma_f64 v[43:44], v[37:38], v[37:38], 1.0
	v_fma_f64 v[5:6], -v[5:6], v[33:34], v[7:8]
	global_store_dwordx2 v[49:50], v[35:36], off
	v_mul_f64 v[35:36], v[65:66], v[13:14]
	v_fma_f64 v[43:44], v[33:34], v[33:34], v[43:44]
	v_mul_f64 v[13:14], v[67:68], v[13:14]
	v_fma_f64 v[49:50], -v[35:36], v[37:38], v[53:54]
	v_fma_f64 v[35:36], -v[35:36], v[33:34], v[39:40]
	;; [unrolled: 1-line block ×3, first 2 shown]
	global_store_dwordx2 v[9:10], v[49:50], off
	v_div_scale_f64 v[9:10], s[0:1], v[43:44], v[43:44], 2.0
	v_rcp_f64_e32 v[49:50], v[9:10]
	v_fma_f64 v[53:54], -v[9:10], v[49:50], 1.0
	v_fma_f64 v[49:50], v[49:50], v[53:54], v[49:50]
	s_waitcnt vmcnt(3)
	v_fma_f64 v[13:14], -v[13:14], v[37:38], v[41:42]
	v_fma_f64 v[53:54], -v[9:10], v[49:50], 1.0
	v_fma_f64 v[49:50], v[49:50], v[53:54], v[49:50]
	v_div_scale_f64 v[53:54], vcc, 2.0, v[43:44], 2.0
	v_mul_f64 v[55:56], v[53:54], v[49:50]
	v_fma_f64 v[9:10], -v[9:10], v[55:56], v[53:54]
	v_mov_b32_e32 v53, s11
	v_mov_b32_e32 v54, s11
	v_div_fmas_f64 v[9:10], v[9:10], v[49:50], v[55:56]
	v_add_u32_e32 v49, s15, v17
	v_ashrrev_i32_e32 v50, 31, v49
	v_lshlrev_b64 v[49:50], 3, v[49:50]
	v_mov_b32_e32 v55, s11
	v_add_co_u32_e32 v49, vcc, s10, v49
	v_addc_co_u32_e32 v50, vcc, v53, v50, vcc
	v_add_co_u32_e32 v53, vcc, s10, v59
	v_addc_co_u32_e32 v54, vcc, v54, v60, vcc
	;; [unrolled: 2-line block ×3, first 2 shown]
	global_load_dwordx2 v[3:4], v[53:54], off
	global_load_dwordx2 v[1:2], v[27:28], off
	global_load_dwordx2 v[55:56], v[49:50], off
	v_div_fixup_f64 v[9:10], v[9:10], v[43:44], 2.0
	s_waitcnt vmcnt(1)
	v_fma_f64 v[43:44], v[37:38], v[3:4], v[1:2]
	s_waitcnt vmcnt(0)
	v_fma_f64 v[43:44], v[33:34], v[55:56], v[43:44]
	v_mul_f64 v[7:8], v[43:44], v[9:10]
	v_fma_f64 v[1:2], -v[43:44], v[9:10], v[1:2]
	v_fma_f64 v[3:4], -v[37:38], v[7:8], v[3:4]
	;; [unrolled: 1-line block ×3, first 2 shown]
	global_store_dwordx2 v[51:52], v[29:30], off
	global_store_dwordx2 v[45:46], v[5:6], off
	;; [unrolled: 1-line block ×8, first 2 shown]
	s_branch .LBB4_4
.LBB4_7:
	s_mov_b32 s0, s33
.LBB4_8:
	s_mul_i32 s1, s0, s14
	v_add_u32_e32 v9, s1, v15
	v_add_u32_e32 v1, s14, v9
	v_ashrrev_i32_e32 v2, 31, v1
	v_lshlrev_b64 v[5:6], 3, v[1:2]
	s_waitcnt lgkmcnt(0)
	v_mov_b32_e32 v2, s27
	v_add_co_u32_e32 v1, vcc, s26, v5
	v_addc_co_u32_e32 v2, vcc, v2, v6, vcc
	global_load_dwordx2 v[3:4], v[1:2], off
	s_waitcnt vmcnt(0)
	v_fma_f64 v[7:8], v[3:4], v[3:4], 0
	v_cmp_neq_f64_e32 vcc, 0, v[7:8]
	s_and_saveexec_b64 s[6:7], vcc
	s_cbranch_execz .LBB4_10
; %bb.9:
	v_ashrrev_i32_e32 v10, 31, v9
	v_lshlrev_b64 v[9:10], 3, v[9:10]
	v_mov_b32_e32 v12, s21
	v_add_co_u32_e32 v11, vcc, s20, v9
	v_addc_co_u32_e32 v12, vcc, v12, v10, vcc
	global_load_dwordx2 v[13:14], v[11:12], off
	s_mov_b32 s2, 0
	s_brev_b32 s3, 8
	v_mov_b32_e32 v18, 0x100
	v_mov_b32_e32 v33, s25
	;; [unrolled: 1-line block ×9, first 2 shown]
	s_waitcnt vmcnt(0)
	v_fma_f64 v[16:17], v[13:14], v[13:14], v[7:8]
	v_cmp_gt_f64_e32 vcc, s[2:3], v[16:17]
	v_cndmask_b32_e32 v18, 0, v18, vcc
	v_ldexp_f64 v[16:17], v[16:17], v18
	v_rsq_f64_e32 v[18:19], v[16:17]
	v_mul_f64 v[20:21], v[16:17], v[18:19]
	v_mul_f64 v[18:19], v[18:19], 0.5
	v_fma_f64 v[22:23], -v[18:19], v[20:21], 0.5
	v_fma_f64 v[20:21], v[20:21], v[22:23], v[20:21]
	v_fma_f64 v[18:19], v[18:19], v[22:23], v[18:19]
	v_fma_f64 v[22:23], -v[20:21], v[20:21], v[16:17]
	v_fma_f64 v[20:21], v[22:23], v[18:19], v[20:21]
	v_fma_f64 v[22:23], -v[20:21], v[20:21], v[16:17]
	v_fma_f64 v[18:19], v[22:23], v[18:19], v[20:21]
	v_mov_b32_e32 v20, 0xffffff80
	v_mov_b32_e32 v21, 0x260
	v_cndmask_b32_e32 v20, 0, v20, vcc
	v_cmp_class_f64_e32 vcc, v[16:17], v21
	v_ldexp_f64 v[18:19], v[18:19], v20
	v_cndmask_b32_e32 v16, v18, v16, vcc
	v_cndmask_b32_e32 v17, v19, v17, vcc
	v_cmp_lt_f64_e32 vcc, 0, v[13:14]
	v_xor_b32_e32 v18, 0x80000000, v17
	v_cndmask_b32_e32 v17, v18, v17, vcc
	v_add_f64 v[16:17], v[13:14], v[16:17]
	v_add_co_u32_e32 v32, vcc, s24, v5
	v_addc_co_u32_e32 v33, vcc, v33, v6, vcc
	global_load_dwordx2 v[34:35], v[32:33], off
	v_div_scale_f64 v[18:19], s[2:3], v[16:17], v[16:17], v[3:4]
	v_div_scale_f64 v[20:21], s[2:3], v[16:17], v[16:17], 0
	v_mul_f64 v[24:25], v[16:17], v[16:17]
	v_fma_f64 v[7:8], v[16:17], v[16:17], v[7:8]
	s_mul_i32 s2, s0, s13
	v_div_scale_f64 v[40:41], vcc, v[3:4], v[16:17], v[3:4]
	v_add_f64 v[24:25], v[24:25], v[24:25]
	v_rcp_f64_e32 v[22:23], v[18:19]
	v_rcp_f64_e32 v[26:27], v[20:21]
	v_div_scale_f64 v[30:31], s[0:1], v[7:8], v[7:8], v[24:25]
	v_fma_f64 v[28:29], -v[18:19], v[22:23], 1.0
	v_fma_f64 v[38:39], -v[20:21], v[26:27], 1.0
	v_fma_f64 v[22:23], v[22:23], v[28:29], v[22:23]
	v_add_u32_e32 v28, s2, v15
	v_ashrrev_i32_e32 v29, 31, v28
	v_lshlrev_b64 v[36:37], 3, v[28:29]
	v_fma_f64 v[26:27], v[26:27], v[38:39], v[26:27]
	v_add_co_u32_e64 v44, s[0:1], s16, v36
	v_addc_co_u32_e64 v45, s[0:1], v45, v37, s[0:1]
	global_load_dwordx2 v[46:47], v[44:45], off
	v_fma_f64 v[42:43], -v[18:19], v[22:23], 1.0
	v_rcp_f64_e32 v[38:39], v[30:31]
	v_fma_f64 v[48:49], -v[20:21], v[26:27], 1.0
	v_mov_b32_e32 v15, s21
	v_mov_b32_e32 v29, s23
	v_add_u32_e32 v28, s13, v28
	v_fma_f64 v[22:23], v[22:23], v[42:43], v[22:23]
	v_div_scale_f64 v[42:43], s[0:1], 0, v[16:17], 0
	v_fma_f64 v[26:27], v[26:27], v[48:49], v[26:27]
	v_mul_f64 v[50:51], v[40:41], v[22:23]
	v_fma_f64 v[48:49], -v[30:31], v[38:39], 1.0
	v_fma_f64 v[18:19], -v[18:19], v[50:51], v[40:41]
	v_mul_f64 v[52:53], v[42:43], v[26:27]
	v_fma_f64 v[38:39], v[38:39], v[48:49], v[38:39]
	v_add_co_u32_e64 v40, s[2:3], s20, v5
	v_addc_co_u32_e64 v41, s[2:3], v15, v6, s[2:3]
	v_div_fmas_f64 v[18:19], v[18:19], v[22:23], v[50:51]
	v_fma_f64 v[20:21], -v[20:21], v[52:53], v[42:43]
	v_add_co_u32_e32 v5, vcc, s22, v5
	v_addc_co_u32_e32 v6, vcc, v29, v6, vcc
	v_fma_f64 v[48:49], -v[30:31], v[38:39], 1.0
	v_div_scale_f64 v[50:51], s[2:3], v[24:25], v[7:8], v[24:25]
	s_mov_b64 vcc, s[0:1]
	s_nop 0
	v_div_fmas_f64 v[20:21], v[20:21], v[26:27], v[52:53]
	v_add_co_u32_e32 v26, vcc, s22, v9
	v_addc_co_u32_e32 v27, vcc, v54, v10, vcc
	v_fma_f64 v[38:39], v[38:39], v[48:49], v[38:39]
	v_div_fixup_f64 v[18:19], v[18:19], v[16:17], v[3:4]
	v_add_co_u32_e32 v9, vcc, s24, v9
	v_addc_co_u32_e32 v10, vcc, v55, v10, vcc
	v_add_co_u32_e32 v56, vcc, s18, v36
	v_mul_f64 v[54:55], v[50:51], v[38:39]
	v_ashrrev_i32_e32 v29, 31, v28
	v_addc_co_u32_e32 v57, vcc, v57, v37, vcc
	v_div_fixup_f64 v[15:16], v[20:21], v[16:17], 0
	v_fma_f64 v[20:21], v[18:19], v[18:19], 1.0
	v_lshlrev_b64 v[28:29], 3, v[28:29]
	v_add_co_u32_e32 v36, vcc, s10, v36
	v_fma_f64 v[30:31], -v[30:31], v[54:55], v[50:51]
	v_addc_co_u32_e32 v37, vcc, v59, v37, vcc
	v_add_co_u32_e32 v50, vcc, s16, v28
	v_fma_f64 v[20:21], v[15:16], v[15:16], v[20:21]
	v_addc_co_u32_e32 v51, vcc, v58, v29, vcc
	s_mov_b64 vcc, s[2:3]
	global_load_dwordx2 v[22:23], v[40:41], off
	global_load_dwordx2 v[42:43], v[5:6], off
	;; [unrolled: 1-line block ×4, first 2 shown]
	v_div_fmas_f64 v[30:31], v[30:31], v[38:39], v[54:55]
	v_add_co_u32_e32 v28, vcc, s10, v28
	v_div_scale_f64 v[38:39], s[0:1], v[20:21], v[20:21], 2.0
	v_addc_co_u32_e32 v29, vcc, v60, v29, vcc
	s_waitcnt vmcnt(4)
	v_fma_f64 v[60:61], v[18:19], v[34:35], v[46:47]
	global_load_dwordx2 v[54:55], v[56:57], off
	global_load_dwordx2 v[58:59], v[50:51], off
	;; [unrolled: 1-line block ×4, first 2 shown]
	v_fma_f64 v[3:4], v[18:19], v[3:4], v[13:14]
	v_div_fixup_f64 v[7:8], v[30:31], v[7:8], v[24:25]
	v_fma_f64 v[24:25], v[15:16], 0, v[60:61]
	v_div_scale_f64 v[60:61], vcc, 2.0, v[20:21], 2.0
	v_rcp_f64_e32 v[30:31], v[38:39]
	v_fma_f64 v[3:4], v[15:16], 0, v[3:4]
	v_fma_f64 v[46:47], -v[24:25], v[7:8], v[46:47]
	v_mul_f64 v[24:25], v[24:25], v[7:8]
	v_fma_f64 v[3:4], -v[3:4], v[7:8], v[13:14]
	global_store_dwordx2 v[44:45], v[46:47], off
	global_load_dwordx2 v[46:47], v[50:51], off
	v_fma_f64 v[44:45], -v[38:39], v[30:31], 1.0
	v_fma_f64 v[30:31], v[30:31], v[44:45], v[30:31]
	v_fma_f64 v[44:45], -v[38:39], v[30:31], 1.0
	v_fma_f64 v[30:31], v[30:31], v[44:45], v[30:31]
	v_mul_f64 v[44:45], v[60:61], v[30:31]
	v_fma_f64 v[38:39], -v[38:39], v[44:45], v[60:61]
	s_waitcnt vmcnt(7)
	v_fma_f64 v[60:61], v[18:19], v[22:23], v[48:49]
	v_div_fmas_f64 v[30:31], v[38:39], v[30:31], v[44:45]
	s_waitcnt vmcnt(6)
	v_fma_f64 v[44:45], v[18:19], v[42:43], v[52:53]
	v_fma_f64 v[38:39], v[15:16], 0, v[60:61]
	s_waitcnt vmcnt(4)
	v_fma_f64 v[58:59], v[18:19], v[58:59], v[54:55]
	s_waitcnt vmcnt(2)
	v_fma_f64 v[60:61], v[18:19], v[64:65], v[62:63]
	v_fma_f64 v[44:45], v[15:16], 0, v[44:45]
	v_fma_f64 v[13:14], -v[38:39], v[7:8], v[48:49]
	global_store_dwordx2 v[11:12], v[3:4], off
	global_store_dwordx2 v[26:27], v[13:14], off
	v_fma_f64 v[48:49], v[15:16], 0, v[58:59]
	v_fma_f64 v[15:16], v[15:16], 0, v[60:61]
	v_div_fixup_f64 v[20:21], v[30:31], v[20:21], 2.0
	v_fma_f64 v[3:4], -v[44:45], v[7:8], v[52:53]
	v_mul_f64 v[11:12], v[38:39], v[7:8]
	v_mul_f64 v[13:14], v[44:45], v[7:8]
	;; [unrolled: 1-line block ×3, first 2 shown]
	v_fma_f64 v[7:8], -v[48:49], v[7:8], v[54:55]
	v_mul_f64 v[30:31], v[15:16], v[20:21]
	v_fma_f64 v[15:16], -v[15:16], v[20:21], v[62:63]
	global_store_dwordx2 v[9:10], v[3:4], off
	v_fma_f64 v[3:4], -v[11:12], v[18:19], v[22:23]
	v_fma_f64 v[9:10], -v[13:14], v[18:19], v[42:43]
	;; [unrolled: 1-line block ×3, first 2 shown]
	s_waitcnt vmcnt(3)
	v_fma_f64 v[13:14], -v[26:27], v[18:19], v[46:47]
	v_fma_f64 v[20:21], -v[18:19], v[30:31], v[64:65]
	global_store_dwordx2 v[56:57], v[7:8], off
	global_store_dwordx2 v[36:37], v[15:16], off
	;; [unrolled: 1-line block ×8, first 2 shown]
.LBB4_10:
	s_or_b64 exec, exec, s[6:7]
.LBB4_11:
	s_cmp_lt_i32 s12, 1
	s_cbranch_scc1 .LBB4_24
; %bb.12:
	s_mul_i32 s2, s14, s12
	v_add_u32_e32 v6, s2, v0
	s_add_i32 s2, s12, 3
	s_mul_i32 s2, s14, s2
	v_add_u32_e32 v7, s2, v0
	s_add_i32 s2, s12, 2
	s_mul_i32 s2, s14, s2
	s_load_dwordx2 s[0:1], s[4:5], 0x38
	v_add_u32_e32 v8, s2, v0
	s_add_i32 s2, s12, 1
	s_mul_i32 s2, s14, s2
	v_add_u32_e32 v9, s2, v0
	s_add_i32 s2, s12, -1
	s_mul_i32 s3, s14, s2
	s_mul_i32 s2, s13, s2
	v_add_u32_e32 v10, s3, v0
	v_add_u32_e32 v11, s2, v0
	s_mov_b32 s4, s12
	s_branch .LBB4_14
.LBB4_13:                               ;   in Loop: Header=BB4_14 Depth=1
	s_waitcnt lgkmcnt(0)
	v_mov_b32_e32 v12, s11
	v_add_co_u32_e32 v4, vcc, s10, v4
	v_addc_co_u32_e32 v5, vcc, v12, v5, vcc
	global_load_dwordx2 v[4:5], v[4:5], off
	v_lshlrev_b64 v[0:1], 3, v[0:1]
	v_mov_b32_e32 v13, s21
	v_add_co_u32_e32 v12, vcc, s20, v0
	v_addc_co_u32_e32 v13, vcc, v13, v1, vcc
	global_load_dwordx2 v[12:13], v[12:13], off
	v_subrev_u32_e32 v6, s14, v6
	v_subrev_u32_e32 v7, s14, v7
	;; [unrolled: 1-line block ×6, first 2 shown]
	s_waitcnt vmcnt(1)
	v_add_f64 v[2:3], v[4:5], -v[2:3]
	s_waitcnt vmcnt(0)
	v_div_scale_f64 v[4:5], s[2:3], v[12:13], v[12:13], v[2:3]
	s_add_i32 s2, s4, -1
	s_cmp_gt_u32 s4, 1
	s_mov_b32 s4, s2
	v_rcp_f64_e32 v[14:15], v[4:5]
	v_fma_f64 v[16:17], -v[4:5], v[14:15], 1.0
	v_fma_f64 v[14:15], v[14:15], v[16:17], v[14:15]
	v_div_scale_f64 v[16:17], vcc, v[2:3], v[12:13], v[2:3]
	v_fma_f64 v[18:19], -v[4:5], v[14:15], 1.0
	v_fma_f64 v[14:15], v[14:15], v[18:19], v[14:15]
	v_mul_f64 v[18:19], v[16:17], v[14:15]
	v_fma_f64 v[4:5], -v[4:5], v[18:19], v[16:17]
	v_div_fmas_f64 v[4:5], v[4:5], v[14:15], v[18:19]
	v_mov_b32_e32 v14, s1
	v_add_co_u32_e32 v0, vcc, s0, v0
	v_addc_co_u32_e32 v1, vcc, v14, v1, vcc
	v_div_fixup_f64 v[2:3], v[4:5], v[12:13], v[2:3]
	global_store_dwordx2 v[0:1], v[2:3], off
	s_cbranch_scc0 .LBB4_24
.LBB4_14:                               ; =>This Inner Loop Header: Depth=1
	v_add_u32_e32 v0, s15, v10
	v_mov_b32_e32 v2, 0
	v_mov_b32_e32 v3, 0
	s_cmp_ge_i32 s4, s12
	v_ashrrev_i32_e32 v1, 31, v0
	s_cbranch_scc1 .LBB4_16
; %bb.15:                               ;   in Loop: Header=BB4_14 Depth=1
	v_lshlrev_b64 v[2:3], 3, v[0:1]
	s_waitcnt lgkmcnt(0)
	v_mov_b32_e32 v4, s23
	v_add_co_u32_e32 v2, vcc, s22, v2
	v_addc_co_u32_e32 v3, vcc, v4, v3, vcc
	v_add_u32_e32 v4, s15, v6
	v_ashrrev_i32_e32 v5, 31, v4
	v_lshlrev_b64 v[4:5], 3, v[4:5]
	v_mov_b32_e32 v12, s1
	v_add_co_u32_e32 v4, vcc, s0, v4
	v_addc_co_u32_e32 v5, vcc, v12, v5, vcc
	global_load_dwordx2 v[2:3], v[2:3], off
	s_nop 0
	global_load_dwordx2 v[4:5], v[4:5], off
	s_waitcnt vmcnt(0)
	v_fma_f64 v[2:3], v[2:3], v[4:5], 0
.LBB4_16:                               ;   in Loop: Header=BB4_14 Depth=1
	s_add_i32 s5, s4, 1
	s_cmp_ge_i32 s5, s12
	s_cbranch_scc1 .LBB4_18
; %bb.17:                               ;   in Loop: Header=BB4_14 Depth=1
	v_lshlrev_b64 v[4:5], 3, v[0:1]
	s_waitcnt lgkmcnt(0)
	v_mov_b32_e32 v12, s25
	v_add_co_u32_e32 v4, vcc, s24, v4
	v_addc_co_u32_e32 v5, vcc, v12, v5, vcc
	v_add_u32_e32 v12, s15, v9
	v_ashrrev_i32_e32 v13, 31, v12
	v_lshlrev_b64 v[12:13], 3, v[12:13]
	v_mov_b32_e32 v14, s1
	v_add_co_u32_e32 v12, vcc, s0, v12
	v_addc_co_u32_e32 v13, vcc, v14, v13, vcc
	global_load_dwordx2 v[4:5], v[4:5], off
	s_nop 0
	global_load_dwordx2 v[12:13], v[12:13], off
	s_waitcnt vmcnt(0)
	v_fma_f64 v[2:3], v[4:5], v[12:13], v[2:3]
.LBB4_18:                               ;   in Loop: Header=BB4_14 Depth=1
	s_add_i32 s5, s5, 1
	v_add_u32_e32 v4, s15, v11
	s_cmp_lt_i32 s5, s12
	s_mov_b64 s[2:3], -1
	s_cbranch_scc0 .LBB4_21
; %bb.19:                               ;   in Loop: Header=BB4_14 Depth=1
	s_andn2_b64 vcc, exec, s[2:3]
	s_cbranch_vccz .LBB4_22
.LBB4_20:                               ;   in Loop: Header=BB4_14 Depth=1
	s_add_i32 s5, s5, 1
	v_lshlrev_b64 v[4:5], 3, v[4:5]
	s_cmp_ge_i32 s5, s12
	s_cbranch_scc1 .LBB4_13
	s_branch .LBB4_23
.LBB4_21:                               ;   in Loop: Header=BB4_14 Depth=1
	v_ashrrev_i32_e32 v5, 31, v4
	s_cbranch_execnz .LBB4_20
.LBB4_22:                               ;   in Loop: Header=BB4_14 Depth=1
	v_ashrrev_i32_e32 v5, 31, v4
	v_lshlrev_b64 v[12:13], 3, v[4:5]
	s_waitcnt lgkmcnt(0)
	v_mov_b32_e32 v14, s17
	v_add_co_u32_e32 v12, vcc, s16, v12
	v_addc_co_u32_e32 v13, vcc, v14, v13, vcc
	v_add_u32_e32 v14, s15, v8
	v_ashrrev_i32_e32 v15, 31, v14
	v_lshlrev_b64 v[14:15], 3, v[14:15]
	v_mov_b32_e32 v16, s1
	v_add_co_u32_e32 v14, vcc, s0, v14
	v_addc_co_u32_e32 v15, vcc, v16, v15, vcc
	global_load_dwordx2 v[12:13], v[12:13], off
	s_nop 0
	global_load_dwordx2 v[14:15], v[14:15], off
	s_waitcnt vmcnt(0)
	v_fma_f64 v[2:3], v[12:13], v[14:15], v[2:3]
	s_add_i32 s5, s5, 1
	v_lshlrev_b64 v[4:5], 3, v[4:5]
	s_cmp_ge_i32 s5, s12
	s_cbranch_scc1 .LBB4_13
.LBB4_23:                               ;   in Loop: Header=BB4_14 Depth=1
	v_add_u32_e32 v14, s15, v7
	v_ashrrev_i32_e32 v15, 31, v14
	s_waitcnt lgkmcnt(0)
	v_mov_b32_e32 v13, s19
	v_add_co_u32_e32 v12, vcc, s18, v4
	v_lshlrev_b64 v[14:15], 3, v[14:15]
	v_addc_co_u32_e32 v13, vcc, v13, v5, vcc
	v_mov_b32_e32 v16, s1
	v_add_co_u32_e32 v14, vcc, s0, v14
	v_addc_co_u32_e32 v15, vcc, v16, v15, vcc
	global_load_dwordx2 v[12:13], v[12:13], off
	s_nop 0
	global_load_dwordx2 v[14:15], v[14:15], off
	s_waitcnt vmcnt(0)
	v_fma_f64 v[2:3], v[12:13], v[14:15], v[2:3]
	s_branch .LBB4_13
.LBB4_24:
	s_endpgm
	.section	.rodata,"a",@progbits
	.p2align	6, 0x0
	.amdhsa_kernel _ZN9rocsparseL44gpsv_interleaved_batch_householder_qr_kernelILj256EdEEviiiPT0_S2_S2_S2_S2_S2_S2_S2_S2_
		.amdhsa_group_segment_fixed_size 0
		.amdhsa_private_segment_fixed_size 0
		.amdhsa_kernarg_size 344
		.amdhsa_user_sgpr_count 6
		.amdhsa_user_sgpr_private_segment_buffer 1
		.amdhsa_user_sgpr_dispatch_ptr 0
		.amdhsa_user_sgpr_queue_ptr 0
		.amdhsa_user_sgpr_kernarg_segment_ptr 1
		.amdhsa_user_sgpr_dispatch_id 0
		.amdhsa_user_sgpr_flat_scratch_init 0
		.amdhsa_user_sgpr_private_segment_size 0
		.amdhsa_uses_dynamic_stack 0
		.amdhsa_system_sgpr_private_segment_wavefront_offset 0
		.amdhsa_system_sgpr_workgroup_id_x 1
		.amdhsa_system_sgpr_workgroup_id_y 0
		.amdhsa_system_sgpr_workgroup_id_z 0
		.amdhsa_system_sgpr_workgroup_info 0
		.amdhsa_system_vgpr_workitem_id 0
		.amdhsa_next_free_vgpr 69
		.amdhsa_next_free_sgpr 37
		.amdhsa_reserve_vcc 1
		.amdhsa_reserve_flat_scratch 0
		.amdhsa_float_round_mode_32 0
		.amdhsa_float_round_mode_16_64 0
		.amdhsa_float_denorm_mode_32 3
		.amdhsa_float_denorm_mode_16_64 3
		.amdhsa_dx10_clamp 1
		.amdhsa_ieee_mode 1
		.amdhsa_fp16_overflow 0
		.amdhsa_exception_fp_ieee_invalid_op 0
		.amdhsa_exception_fp_denorm_src 0
		.amdhsa_exception_fp_ieee_div_zero 0
		.amdhsa_exception_fp_ieee_overflow 0
		.amdhsa_exception_fp_ieee_underflow 0
		.amdhsa_exception_fp_ieee_inexact 0
		.amdhsa_exception_int_div_zero 0
	.end_amdhsa_kernel
	.section	.text._ZN9rocsparseL44gpsv_interleaved_batch_householder_qr_kernelILj256EdEEviiiPT0_S2_S2_S2_S2_S2_S2_S2_S2_,"axG",@progbits,_ZN9rocsparseL44gpsv_interleaved_batch_householder_qr_kernelILj256EdEEviiiPT0_S2_S2_S2_S2_S2_S2_S2_S2_,comdat
.Lfunc_end4:
	.size	_ZN9rocsparseL44gpsv_interleaved_batch_householder_qr_kernelILj256EdEEviiiPT0_S2_S2_S2_S2_S2_S2_S2_S2_, .Lfunc_end4-_ZN9rocsparseL44gpsv_interleaved_batch_householder_qr_kernelILj256EdEEviiiPT0_S2_S2_S2_S2_S2_S2_S2_S2_
                                        ; -- End function
	.set _ZN9rocsparseL44gpsv_interleaved_batch_householder_qr_kernelILj256EdEEviiiPT0_S2_S2_S2_S2_S2_S2_S2_S2_.num_vgpr, 69
	.set _ZN9rocsparseL44gpsv_interleaved_batch_householder_qr_kernelILj256EdEEviiiPT0_S2_S2_S2_S2_S2_S2_S2_S2_.num_agpr, 0
	.set _ZN9rocsparseL44gpsv_interleaved_batch_householder_qr_kernelILj256EdEEviiiPT0_S2_S2_S2_S2_S2_S2_S2_S2_.numbered_sgpr, 37
	.set _ZN9rocsparseL44gpsv_interleaved_batch_householder_qr_kernelILj256EdEEviiiPT0_S2_S2_S2_S2_S2_S2_S2_S2_.num_named_barrier, 0
	.set _ZN9rocsparseL44gpsv_interleaved_batch_householder_qr_kernelILj256EdEEviiiPT0_S2_S2_S2_S2_S2_S2_S2_S2_.private_seg_size, 0
	.set _ZN9rocsparseL44gpsv_interleaved_batch_householder_qr_kernelILj256EdEEviiiPT0_S2_S2_S2_S2_S2_S2_S2_S2_.uses_vcc, 1
	.set _ZN9rocsparseL44gpsv_interleaved_batch_householder_qr_kernelILj256EdEEviiiPT0_S2_S2_S2_S2_S2_S2_S2_S2_.uses_flat_scratch, 0
	.set _ZN9rocsparseL44gpsv_interleaved_batch_householder_qr_kernelILj256EdEEviiiPT0_S2_S2_S2_S2_S2_S2_S2_S2_.has_dyn_sized_stack, 0
	.set _ZN9rocsparseL44gpsv_interleaved_batch_householder_qr_kernelILj256EdEEviiiPT0_S2_S2_S2_S2_S2_S2_S2_S2_.has_recursion, 0
	.set _ZN9rocsparseL44gpsv_interleaved_batch_householder_qr_kernelILj256EdEEviiiPT0_S2_S2_S2_S2_S2_S2_S2_S2_.has_indirect_call, 0
	.section	.AMDGPU.csdata,"",@progbits
; Kernel info:
; codeLenInByte = 3836
; TotalNumSgprs: 41
; NumVgprs: 69
; ScratchSize: 0
; MemoryBound: 0
; FloatMode: 240
; IeeeMode: 1
; LDSByteSize: 0 bytes/workgroup (compile time only)
; SGPRBlocks: 5
; VGPRBlocks: 17
; NumSGPRsForWavesPerEU: 41
; NumVGPRsForWavesPerEU: 69
; Occupancy: 3
; WaveLimiterHint : 0
; COMPUTE_PGM_RSRC2:SCRATCH_EN: 0
; COMPUTE_PGM_RSRC2:USER_SGPR: 6
; COMPUTE_PGM_RSRC2:TRAP_HANDLER: 0
; COMPUTE_PGM_RSRC2:TGID_X_EN: 1
; COMPUTE_PGM_RSRC2:TGID_Y_EN: 0
; COMPUTE_PGM_RSRC2:TGID_Z_EN: 0
; COMPUTE_PGM_RSRC2:TIDIG_COMP_CNT: 0
	.section	.text._ZN9rocsparseL39gpsv_interleaved_batch_givens_qr_kernelILj128EdEEviiiPT0_S2_S2_S2_S2_S2_S2_S2_,"axG",@progbits,_ZN9rocsparseL39gpsv_interleaved_batch_givens_qr_kernelILj128EdEEviiiPT0_S2_S2_S2_S2_S2_S2_S2_,comdat
	.globl	_ZN9rocsparseL39gpsv_interleaved_batch_givens_qr_kernelILj128EdEEviiiPT0_S2_S2_S2_S2_S2_S2_S2_ ; -- Begin function _ZN9rocsparseL39gpsv_interleaved_batch_givens_qr_kernelILj128EdEEviiiPT0_S2_S2_S2_S2_S2_S2_S2_
	.p2align	8
	.type	_ZN9rocsparseL39gpsv_interleaved_batch_givens_qr_kernelILj128EdEEviiiPT0_S2_S2_S2_S2_S2_S2_S2_,@function
_ZN9rocsparseL39gpsv_interleaved_batch_givens_qr_kernelILj128EdEEviiiPT0_S2_S2_S2_S2_S2_S2_S2_: ; @_ZN9rocsparseL39gpsv_interleaved_batch_givens_qr_kernelILj128EdEEviiiPT0_S2_S2_S2_S2_S2_S2_S2_
; %bb.0:
	s_load_dwordx4 s[16:19], s[4:5], 0x0
	s_waitcnt lgkmcnt(0)
	s_lshl_b32 s19, s6, 7
	v_or_b32_e32 v13, s19, v0
	v_cmp_gt_i32_e32 vcc, s17, v13
	s_and_saveexec_b64 s[0:1], vcc
	s_cbranch_execz .LBB5_7
; %bb.1:
	s_load_dwordx2 s[2:3], s[4:5], 0x48
	s_load_dwordx4 s[20:23], s[4:5], 0x38
	s_load_dwordx8 s[8:15], s[4:5], 0x18
	s_add_i32 s24, s16, -2
	s_cmp_lt_i32 s16, 3
	s_cbranch_scc1 .LBB5_4
; %bb.2:
	s_load_dwordx2 s[4:5], s[4:5], 0x10
	s_mov_b32 s6, 0
	s_lshl_b32 s25, s18, 1
	s_waitcnt lgkmcnt(0)
	v_mov_b32_e32 v14, s9
	v_mov_b32_e32 v15, s11
	;; [unrolled: 1-line block ×5, first 2 shown]
	s_brev_b32 s7, 8
	v_mov_b32_e32 v19, 0x100
	v_mov_b32_e32 v20, 0xffffff80
	;; [unrolled: 1-line block ×7, first 2 shown]
	s_mov_b32 s5, s24
	v_mov_b32_e32 v10, v13
.LBB5_3:                                ; =>This Inner Loop Header: Depth=1
	v_add_u32_e32 v3, s25, v11
	v_add_u32_e32 v1, s18, v11
	v_ashrrev_i32_e32 v4, 31, v3
	v_ashrrev_i32_e32 v2, 31, v1
	v_lshlrev_b64 v[25:26], 3, v[3:4]
	v_lshlrev_b64 v[4:5], 3, v[1:2]
	v_add_co_u32_e32 v2, vcc, s4, v25
	v_add_co_u32_e64 v6, s[0:1], s8, v4
	v_addc_co_u32_e32 v3, vcc, v17, v26, vcc
	v_addc_co_u32_e64 v7, vcc, v14, v5, s[0:1]
	global_load_dwordx2 v[8:9], v[2:3], off
	global_load_dwordx2 v[27:28], v[6:7], off
	s_add_i32 s5, s5, -1
	s_cmp_eq_u32 s5, 0
	s_waitcnt vmcnt(1)
	v_mul_f64 v[2:3], v[8:9], v[8:9]
	s_waitcnt vmcnt(0)
	v_fma_f64 v[2:3], v[27:28], v[27:28], v[2:3]
	v_cmp_gt_f64_e32 vcc, s[6:7], v[2:3]
	v_cndmask_b32_e32 v12, 0, v19, vcc
	v_ldexp_f64 v[2:3], v[2:3], v12
	v_cndmask_b32_e32 v35, 0, v20, vcc
	v_ashrrev_i32_e32 v12, 31, v11
	v_rsq_f64_e32 v[29:30], v[2:3]
	v_cmp_class_f64_e32 vcc, v[2:3], v21
	v_mul_f64 v[31:32], v[2:3], v[29:30]
	v_mul_f64 v[29:30], v[29:30], 0.5
	v_fma_f64 v[33:34], -v[29:30], v[31:32], 0.5
	v_fma_f64 v[31:32], v[31:32], v[33:34], v[31:32]
	v_fma_f64 v[29:30], v[29:30], v[33:34], v[29:30]
	v_fma_f64 v[33:34], -v[31:32], v[31:32], v[2:3]
	v_fma_f64 v[31:32], v[33:34], v[29:30], v[31:32]
	v_fma_f64 v[33:34], -v[31:32], v[31:32], v[2:3]
	v_fma_f64 v[29:30], v[33:34], v[29:30], v[31:32]
	v_ldexp_f64 v[29:30], v[29:30], v35
	v_cndmask_b32_e32 v3, v30, v3, vcc
	v_cndmask_b32_e32 v2, v29, v2, vcc
	v_div_scale_f64 v[29:30], s[0:1], v[2:3], v[2:3], v[27:28]
	v_div_scale_f64 v[31:32], vcc, v[27:28], v[2:3], v[27:28]
	v_rcp_f64_e32 v[33:34], v[29:30]
	v_fma_f64 v[35:36], -v[29:30], v[33:34], 1.0
	v_fma_f64 v[33:34], v[33:34], v[35:36], v[33:34]
	v_fma_f64 v[35:36], -v[29:30], v[33:34], 1.0
	v_fma_f64 v[33:34], v[33:34], v[35:36], v[33:34]
	v_mul_f64 v[35:36], v[31:32], v[33:34]
	v_fma_f64 v[29:30], -v[29:30], v[35:36], v[31:32]
	v_div_scale_f64 v[31:32], s[0:1], v[2:3], v[2:3], v[8:9]
	v_div_fmas_f64 v[29:30], v[29:30], v[33:34], v[35:36]
	v_rcp_f64_e32 v[33:34], v[31:32]
	v_div_fixup_f64 v[29:30], v[29:30], v[2:3], v[27:28]
	v_fma_f64 v[35:36], -v[31:32], v[33:34], 1.0
	v_fma_f64 v[33:34], v[33:34], v[35:36], v[33:34]
	v_fma_f64 v[35:36], -v[31:32], v[33:34], 1.0
	v_fma_f64 v[33:34], v[33:34], v[35:36], v[33:34]
	v_div_scale_f64 v[35:36], vcc, v[8:9], v[2:3], v[8:9]
	v_mul_f64 v[37:38], v[35:36], v[33:34]
	v_fma_f64 v[31:32], -v[31:32], v[37:38], v[35:36]
	v_add_co_u32_e64 v35, s[0:1], s10, v4
	s_nop 0
	v_div_fmas_f64 v[31:32], v[31:32], v[33:34], v[37:38]
	v_add_co_u32_e32 v33, vcc, s8, v25
	v_addc_co_u32_e32 v34, vcc, v14, v26, vcc
	v_addc_co_u32_e64 v36, vcc, v15, v5, s[0:1]
	v_div_fixup_f64 v[31:32], v[31:32], v[2:3], v[8:9]
	global_load_dwordx2 v[2:3], v[33:34], off
	v_mul_f64 v[8:9], v[8:9], v[31:32]
	v_fma_f64 v[27:28], v[27:28], v[29:30], v[8:9]
	global_load_dwordx2 v[8:9], v[35:36], off
	s_nop 0
	global_store_dwordx2 v[6:7], v[27:28], off
	s_waitcnt vmcnt(2)
	v_mul_f64 v[6:7], v[2:3], v[29:30]
	v_mul_f64 v[2:3], v[2:3], v[31:32]
	s_waitcnt vmcnt(1)
	v_fma_f64 v[6:7], -v[8:9], v[31:32], v[6:7]
	v_fma_f64 v[37:38], v[8:9], v[29:30], v[2:3]
	global_store_dwordx2 v[33:34], v[6:7], off
	v_add_co_u32_e32 v6, vcc, s10, v25
	v_add_co_u32_e64 v33, s[0:1], s12, v4
	v_addc_co_u32_e32 v7, vcc, v15, v26, vcc
	v_addc_co_u32_e64 v34, vcc, v16, v5, s[0:1]
	global_load_dwordx2 v[2:3], v[6:7], off
	global_load_dwordx2 v[8:9], v[33:34], off
	s_waitcnt vmcnt(1)
	v_mul_f64 v[39:40], v[2:3], v[29:30]
	v_mul_f64 v[2:3], v[2:3], v[31:32]
	s_waitcnt vmcnt(0)
	v_fma_f64 v[39:40], -v[8:9], v[31:32], v[39:40]
	global_store_dwordx2 v[35:36], v[37:38], off
	global_store_dwordx2 v[6:7], v[39:40], off
	v_add_co_u32_e32 v6, vcc, s12, v25
	v_addc_co_u32_e32 v7, vcc, v16, v26, vcc
	v_fma_f64 v[8:9], v[8:9], v[29:30], v[2:3]
	v_add_co_u32_e32 v2, vcc, s14, v4
	v_addc_co_u32_e32 v3, vcc, v18, v5, vcc
	global_load_dwordx2 v[39:40], v[6:7], off
	global_load_dwordx2 v[41:42], v[2:3], off
	s_waitcnt vmcnt(1)
	v_mul_f64 v[43:44], v[29:30], v[39:40]
	s_waitcnt vmcnt(0)
	v_fma_f64 v[43:44], -v[41:42], v[31:32], v[43:44]
	global_store_dwordx2 v[33:34], v[8:9], off
	global_store_dwordx2 v[6:7], v[43:44], off
	v_mul_f64 v[6:7], v[31:32], v[39:40]
	v_add_co_u32_e32 v39, vcc, s14, v25
	v_addc_co_u32_e32 v40, vcc, v18, v26, vcc
	v_add_co_u32_e32 v4, vcc, s2, v4
	v_addc_co_u32_e32 v5, vcc, v23, v5, vcc
	v_fma_f64 v[6:7], v[41:42], v[29:30], v[6:7]
	global_load_dwordx2 v[41:42], v[39:40], off
	v_add_co_u32_e32 v25, vcc, s2, v25
	v_addc_co_u32_e32 v26, vcc, v23, v26, vcc
	global_load_dwordx2 v[45:46], v[4:5], off
	s_waitcnt vmcnt(1)
	v_mul_f64 v[43:44], v[29:30], v[41:42]
	global_store_dwordx2 v[2:3], v[6:7], off
	global_store_dwordx2 v[39:40], v[43:44], off
	global_load_dwordx2 v[39:40], v[25:26], off
	s_waitcnt vmcnt(0)
	v_mul_f64 v[43:44], v[29:30], v[39:40]
	v_mul_f64 v[39:40], v[31:32], v[39:40]
	v_fma_f64 v[29:30], v[45:46], v[29:30], v[39:40]
	v_fma_f64 v[39:40], -v[45:46], v[31:32], v[43:44]
	global_store_dwordx2 v[4:5], v[29:30], off
	global_store_dwordx2 v[25:26], v[39:40], off
	v_lshlrev_b64 v[25:26], 3, v[11:12]
	v_mul_f64 v[11:12], v[27:28], v[27:28]
	v_add_co_u32_e32 v29, vcc, s10, v25
	v_addc_co_u32_e32 v30, vcc, v15, v26, vcc
	global_load_dwordx2 v[39:40], v[29:30], off
	v_mul_f64 v[31:32], v[31:32], v[41:42]
	s_waitcnt vmcnt(0)
	v_fma_f64 v[11:12], v[39:40], v[39:40], v[11:12]
	v_cmp_gt_f64_e32 vcc, s[6:7], v[11:12]
	v_cndmask_b32_e32 v43, 0, v19, vcc
	v_ldexp_f64 v[11:12], v[11:12], v43
	v_rsq_f64_e32 v[43:44], v[11:12]
	v_mul_f64 v[45:46], v[11:12], v[43:44]
	v_mul_f64 v[43:44], v[43:44], 0.5
	v_fma_f64 v[47:48], -v[43:44], v[45:46], 0.5
	v_fma_f64 v[45:46], v[45:46], v[47:48], v[45:46]
	v_fma_f64 v[43:44], v[43:44], v[47:48], v[43:44]
	v_fma_f64 v[47:48], -v[45:46], v[45:46], v[11:12]
	v_fma_f64 v[45:46], v[47:48], v[43:44], v[45:46]
	v_fma_f64 v[47:48], -v[45:46], v[45:46], v[11:12]
	v_fma_f64 v[43:44], v[47:48], v[43:44], v[45:46]
	v_cndmask_b32_e32 v45, 0, v20, vcc
	v_cmp_class_f64_e32 vcc, v[11:12], v21
	v_ldexp_f64 v[43:44], v[43:44], v45
	v_cndmask_b32_e32 v44, v44, v12, vcc
	v_cndmask_b32_e32 v43, v43, v11, vcc
	v_div_scale_f64 v[11:12], s[0:1], v[43:44], v[43:44], v[39:40]
	v_rcp_f64_e32 v[45:46], v[11:12]
	v_fma_f64 v[47:48], -v[11:12], v[45:46], 1.0
	v_fma_f64 v[45:46], v[45:46], v[47:48], v[45:46]
	v_fma_f64 v[47:48], -v[11:12], v[45:46], 1.0
	v_fma_f64 v[45:46], v[45:46], v[47:48], v[45:46]
	v_div_scale_f64 v[47:48], vcc, v[39:40], v[43:44], v[39:40]
	v_mul_f64 v[49:50], v[47:48], v[45:46]
	v_fma_f64 v[11:12], -v[11:12], v[49:50], v[47:48]
	s_nop 1
	v_div_fmas_f64 v[45:46], v[11:12], v[45:46], v[49:50]
	v_div_scale_f64 v[11:12], s[0:1], v[43:44], v[43:44], v[27:28]
	v_rcp_f64_e32 v[47:48], v[11:12]
	v_fma_f64 v[49:50], -v[11:12], v[47:48], 1.0
	v_fma_f64 v[47:48], v[47:48], v[49:50], v[47:48]
	v_fma_f64 v[49:50], -v[11:12], v[47:48], 1.0
	v_fma_f64 v[47:48], v[47:48], v[49:50], v[47:48]
	v_div_scale_f64 v[49:50], vcc, v[27:28], v[43:44], v[27:28]
	v_mul_f64 v[51:52], v[49:50], v[47:48]
	v_fma_f64 v[11:12], -v[11:12], v[51:52], v[49:50]
	s_nop 1
	v_div_fmas_f64 v[47:48], v[11:12], v[47:48], v[51:52]
	v_ashrrev_i32_e32 v11, 31, v10
	v_lshlrev_b64 v[11:12], 3, v[10:11]
	v_add_u32_e32 v10, s17, v10
	v_add_co_u32_e32 v41, vcc, s22, v11
	v_addc_co_u32_e32 v42, vcc, v24, v12, vcc
	v_div_fixup_f64 v[47:48], v[47:48], v[43:44], v[27:28]
	v_mul_f64 v[49:50], v[31:32], v[47:48]
	v_mul_f64 v[27:28], v[27:28], v[47:48]
	global_store_dwordx2 v[41:42], v[49:50], off
	v_div_fixup_f64 v[41:42], v[45:46], v[43:44], v[39:40]
	v_fma_f64 v[27:28], v[39:40], v[41:42], v[27:28]
	v_mul_f64 v[39:40], v[37:38], v[41:42]
	global_store_dwordx2 v[29:30], v[27:28], off
	v_add_co_u32_e32 v27, vcc, s12, v25
	v_addc_co_u32_e32 v28, vcc, v16, v26, vcc
	global_load_dwordx2 v[29:30], v[27:28], off
	s_waitcnt vmcnt(0)
	v_fma_f64 v[39:40], -v[29:30], v[47:48], v[39:40]
	global_store_dwordx2 v[35:36], v[39:40], off
	v_mul_f64 v[35:36], v[37:38], v[47:48]
	v_fma_f64 v[29:30], v[29:30], v[41:42], v[35:36]
	v_mul_f64 v[35:36], v[8:9], v[41:42]
	v_mul_f64 v[8:9], v[8:9], v[47:48]
	global_store_dwordx2 v[27:28], v[29:30], off
	v_add_co_u32_e32 v27, vcc, s14, v25
	v_addc_co_u32_e32 v28, vcc, v18, v26, vcc
	global_load_dwordx2 v[29:30], v[27:28], off
	s_waitcnt vmcnt(0)
	v_fma_f64 v[35:36], -v[29:30], v[47:48], v[35:36]
	v_fma_f64 v[8:9], v[29:30], v[41:42], v[8:9]
	global_store_dwordx2 v[33:34], v[35:36], off
	v_add_co_u32_e32 v33, vcc, s20, v11
	v_addc_co_u32_e32 v34, vcc, v22, v12, vcc
	v_ashrrev_i32_e32 v11, 31, v10
	v_add_co_u32_e32 v25, vcc, s2, v25
	v_lshlrev_b64 v[11:12], 3, v[10:11]
	v_addc_co_u32_e32 v26, vcc, v23, v26, vcc
	v_add_co_u32_e32 v35, vcc, s20, v11
	v_addc_co_u32_e32 v36, vcc, v22, v12, vcc
	global_store_dwordx2 v[35:36], v[31:32], off
	global_store_dwordx2 v[27:28], v[8:9], off
	global_load_dwordx2 v[29:30], v[33:34], off
	v_mul_f64 v[11:12], v[6:7], v[41:42]
	global_load_dwordx2 v[8:9], v[4:5], off
	v_mul_f64 v[6:7], v[6:7], v[47:48]
	s_waitcnt vmcnt(1)
	v_fma_f64 v[37:38], -v[29:30], v[47:48], v[11:12]
	global_load_dwordx2 v[11:12], v[25:26], off
	s_waitcnt vmcnt(1)
	v_mul_f64 v[27:28], v[41:42], v[8:9]
	v_mul_f64 v[8:9], v[47:48], v[8:9]
	v_fma_f64 v[6:7], v[29:30], v[41:42], v[6:7]
	v_mul_f64 v[29:30], v[31:32], v[41:42]
	s_waitcnt vmcnt(0)
	v_fma_f64 v[8:9], v[11:12], v[41:42], v[8:9]
	v_fma_f64 v[27:28], -v[11:12], v[47:48], v[27:28]
	v_mov_b32_e32 v11, v1
	global_store_dwordx2 v[2:3], v[37:38], off
	global_store_dwordx2 v[33:34], v[6:7], off
	;; [unrolled: 1-line block ×5, first 2 shown]
	s_cbranch_scc0 .LBB5_3
.LBB5_4:
	s_add_i32 s0, s16, -1
	s_mul_i32 s4, s18, s0
	v_add_u32_e32 v1, s4, v13
	v_ashrrev_i32_e32 v2, 31, v1
	v_lshlrev_b64 v[1:2], 3, v[1:2]
	s_waitcnt lgkmcnt(0)
	v_mov_b32_e32 v4, s9
	v_add_co_u32_e32 v3, vcc, s8, v1
	v_addc_co_u32_e32 v4, vcc, v4, v2, vcc
	global_load_dwordx2 v[3:4], v[3:4], off
	s_sub_i32 s5, s4, s18
	v_add_u32_e32 v5, s5, v13
	v_ashrrev_i32_e32 v6, 31, v5
	v_lshlrev_b64 v[5:6], 3, v[5:6]
	v_mov_b32_e32 v8, s11
	v_add_co_u32_e32 v7, vcc, s10, v5
	v_addc_co_u32_e32 v8, vcc, v8, v6, vcc
	global_load_dwordx2 v[9:10], v[7:8], off
	v_mov_b32_e32 v15, s11
	v_add_co_u32_e32 v14, vcc, s10, v1
	v_addc_co_u32_e32 v15, vcc, v15, v2, vcc
	global_load_dwordx2 v[16:17], v[14:15], off
	s_mov_b32 s0, 0
	s_brev_b32 s1, 8
	v_mov_b32_e32 v18, 0x100
	v_mov_b32_e32 v25, s3
	;; [unrolled: 1-line block ×4, first 2 shown]
	s_sub_i32 s5, s5, s18
	s_waitcnt vmcnt(2)
	v_mul_f64 v[11:12], v[3:4], v[3:4]
	s_waitcnt vmcnt(1)
	v_fma_f64 v[11:12], v[9:10], v[9:10], v[11:12]
	v_cmp_gt_f64_e32 vcc, s[0:1], v[11:12]
	v_cndmask_b32_e32 v18, 0, v18, vcc
	v_ldexp_f64 v[11:12], v[11:12], v18
	v_rsq_f64_e32 v[18:19], v[11:12]
	v_mul_f64 v[20:21], v[11:12], v[18:19]
	v_mul_f64 v[18:19], v[18:19], 0.5
	v_fma_f64 v[22:23], -v[18:19], v[20:21], 0.5
	v_fma_f64 v[20:21], v[20:21], v[22:23], v[20:21]
	v_fma_f64 v[18:19], v[18:19], v[22:23], v[18:19]
	v_fma_f64 v[22:23], -v[20:21], v[20:21], v[11:12]
	v_fma_f64 v[20:21], v[22:23], v[18:19], v[20:21]
	v_fma_f64 v[22:23], -v[20:21], v[20:21], v[11:12]
	v_fma_f64 v[18:19], v[22:23], v[18:19], v[20:21]
	v_mov_b32_e32 v20, 0xffffff80
	v_mov_b32_e32 v21, 0x260
	v_cndmask_b32_e32 v20, 0, v20, vcc
	v_cmp_class_f64_e32 vcc, v[11:12], v21
	v_ldexp_f64 v[18:19], v[18:19], v20
	v_cndmask_b32_e32 v12, v19, v12, vcc
	v_cndmask_b32_e32 v11, v18, v11, vcc
	v_div_scale_f64 v[18:19], s[0:1], v[11:12], v[11:12], v[9:10]
	v_div_scale_f64 v[20:21], s[0:1], v[11:12], v[11:12], v[3:4]
	v_add_co_u32_e32 v24, vcc, s2, v1
	v_addc_co_u32_e32 v25, vcc, v25, v2, vcc
	global_load_dwordx2 v[28:29], v[24:25], off
	v_add_co_u32_e32 v30, vcc, s12, v5
	v_addc_co_u32_e32 v31, vcc, v31, v6, vcc
	v_add_co_u32_e32 v32, vcc, s2, v5
	v_addc_co_u32_e32 v33, vcc, v33, v6, vcc
	v_rcp_f64_e32 v[22:23], v[18:19]
	v_rcp_f64_e32 v[26:27], v[20:21]
	global_load_dwordx2 v[34:35], v[30:31], off
	global_load_dwordx2 v[38:39], v[32:33], off
	v_div_scale_f64 v[42:43], s[0:1], v[3:4], v[11:12], v[3:4]
	v_fma_f64 v[36:37], -v[18:19], v[22:23], 1.0
	v_fma_f64 v[40:41], -v[20:21], v[26:27], 1.0
	v_fma_f64 v[22:23], v[22:23], v[36:37], v[22:23]
	v_fma_f64 v[26:27], v[26:27], v[40:41], v[26:27]
	v_div_scale_f64 v[36:37], vcc, v[9:10], v[11:12], v[9:10]
	v_fma_f64 v[40:41], -v[18:19], v[22:23], 1.0
	v_fma_f64 v[44:45], -v[20:21], v[26:27], 1.0
	v_fma_f64 v[22:23], v[22:23], v[40:41], v[22:23]
	v_fma_f64 v[26:27], v[26:27], v[44:45], v[26:27]
	v_mul_f64 v[40:41], v[36:37], v[22:23]
	v_mul_f64 v[44:45], v[42:43], v[26:27]
	v_fma_f64 v[18:19], -v[18:19], v[40:41], v[36:37]
	v_fma_f64 v[20:21], -v[20:21], v[44:45], v[42:43]
	v_mov_b32_e32 v42, s15
	v_div_fmas_f64 v[18:19], v[18:19], v[22:23], v[40:41]
	s_mov_b64 vcc, s[0:1]
	v_div_fmas_f64 v[20:21], v[20:21], v[26:27], v[44:45]
	v_mov_b32_e32 v27, s13
	v_add_co_u32_e32 v26, vcc, s12, v1
	v_addc_co_u32_e32 v27, vcc, v27, v2, vcc
	global_load_dwordx2 v[36:37], v[26:27], off
	v_add_co_u32_e32 v5, vcc, s14, v5
	v_addc_co_u32_e32 v6, vcc, v42, v6, vcc
	global_load_dwordx2 v[42:43], v[5:6], off
	v_div_fixup_f64 v[18:19], v[18:19], v[11:12], v[9:10]
	v_div_fixup_f64 v[11:12], v[20:21], v[11:12], v[3:4]
	s_waitcnt vmcnt(5)
	v_mul_f64 v[20:21], v[16:17], v[18:19]
	s_waitcnt vmcnt(4)
	v_mul_f64 v[22:23], v[18:19], v[28:29]
	v_mul_f64 v[16:17], v[16:17], v[11:12]
	;; [unrolled: 1-line block ×4, first 2 shown]
	s_waitcnt vmcnt(3)
	v_fma_f64 v[20:21], -v[34:35], v[11:12], v[20:21]
	s_waitcnt vmcnt(2)
	v_fma_f64 v[22:23], -v[38:39], v[11:12], v[22:23]
	v_fma_f64 v[16:17], v[34:35], v[18:19], v[16:17]
	v_fma_f64 v[28:29], v[38:39], v[18:19], v[28:29]
	;; [unrolled: 1-line block ×3, first 2 shown]
	v_div_scale_f64 v[40:41], s[0:1], v[20:21], v[20:21], v[22:23]
	v_rcp_f64_e32 v[44:45], v[40:41]
	v_fma_f64 v[46:47], -v[40:41], v[44:45], 1.0
	v_fma_f64 v[44:45], v[44:45], v[46:47], v[44:45]
	v_div_scale_f64 v[46:47], vcc, v[22:23], v[20:21], v[22:23]
	v_fma_f64 v[48:49], -v[40:41], v[44:45], 1.0
	v_fma_f64 v[44:45], v[44:45], v[48:49], v[44:45]
	v_mul_f64 v[48:49], v[46:47], v[44:45]
	v_fma_f64 v[40:41], -v[40:41], v[48:49], v[46:47]
	v_mov_b32_e32 v46, s15
	v_div_fmas_f64 v[40:41], v[40:41], v[44:45], v[48:49]
	s_waitcnt vmcnt(1)
	v_mul_f64 v[44:45], v[36:37], v[18:19]
	v_add_co_u32_e32 v1, vcc, s14, v1
	v_addc_co_u32_e32 v2, vcc, v46, v2, vcc
	global_load_dwordx2 v[46:47], v[1:2], off
	v_mul_f64 v[36:37], v[36:37], v[11:12]
	s_waitcnt vmcnt(1)
	v_fma_f64 v[34:35], -v[42:43], v[11:12], v[44:45]
	global_store_dwordx2 v[30:31], v[16:17], off
	global_store_dwordx2 v[26:27], v[34:35], off
	;; [unrolled: 1-line block ×3, first 2 shown]
	v_div_fixup_f64 v[22:23], v[40:41], v[20:21], v[22:23]
	global_load_dwordx2 v[9:10], v[30:31], off
	v_mov_b32_e32 v41, s3
	v_mov_b32_e32 v44, s13
	v_fma_f64 v[36:37], v[42:43], v[18:19], v[36:37]
	v_mov_b32_e32 v45, s15
	global_store_dwordx2 v[24:25], v[22:23], off
	global_load_dwordx2 v[16:17], v[32:33], off
	s_nop 0
	global_store_dwordx2 v[7:8], v[3:4], off
	global_store_dwordx2 v[14:15], v[20:21], off
	global_load_dwordx2 v[3:4], v[7:8], off
	s_waitcnt vmcnt(9)
	v_mul_f64 v[38:39], v[18:19], v[46:47]
	s_waitcnt vmcnt(3)
	v_fma_f64 v[7:8], -v[22:23], v[9:10], v[16:17]
	v_mov_b32_e32 v17, s21
	s_waitcnt vmcnt(0)
	v_div_scale_f64 v[9:10], s[0:1], v[3:4], v[3:4], v[7:8]
	s_mul_i32 s0, s17, s24
	v_add_u32_e32 v14, s0, v13
	v_ashrrev_i32_e32 v15, 31, v14
	v_lshlrev_b64 v[15:16], 3, v[14:15]
	v_add_co_u32_e32 v22, vcc, s20, v15
	v_addc_co_u32_e32 v23, vcc, v17, v16, vcc
	global_load_dwordx2 v[26:27], v[22:23], off
	v_rcp_f64_e32 v[20:21], v[9:10]
	v_fma_f64 v[28:29], -v[9:10], v[20:21], 1.0
	v_fma_f64 v[20:21], v[20:21], v[28:29], v[20:21]
	v_div_scale_f64 v[28:29], vcc, v[7:8], v[3:4], v[7:8]
	v_fma_f64 v[30:31], -v[9:10], v[20:21], 1.0
	v_fma_f64 v[20:21], v[20:21], v[30:31], v[20:21]
	v_mul_f64 v[30:31], v[28:29], v[20:21]
	v_fma_f64 v[9:10], -v[9:10], v[30:31], v[28:29]
	v_add_u32_e32 v28, s17, v14
	v_ashrrev_i32_e32 v29, 31, v28
	v_mov_b32_e32 v14, s3
	v_div_fmas_f64 v[9:10], v[9:10], v[20:21], v[30:31]
	v_lshlrev_b64 v[20:21], 3, v[28:29]
	v_add_u32_e32 v29, s5, v13
	v_ashrrev_i32_e32 v30, 31, v29
	v_add_co_u32_e32 v20, vcc, s20, v20
	v_lshlrev_b64 v[29:30], 3, v[29:30]
	v_addc_co_u32_e32 v21, vcc, v17, v21, vcc
	v_add_co_u32_e32 v40, vcc, s2, v29
	v_addc_co_u32_e32 v41, vcc, v41, v30, vcc
	global_load_dwordx2 v[34:35], v[20:21], off
	s_sub_i32 s5, s5, s18
	v_mov_b32_e32 v17, s13
	v_div_fixup_f64 v[3:4], v[9:10], v[3:4], v[7:8]
	v_add_co_u32_e32 v7, vcc, s12, v29
	v_addc_co_u32_e32 v8, vcc, v44, v30, vcc
	s_waitcnt vmcnt(1)
	v_fma_f64 v[9:10], -v[26:27], v[11:12], v[38:39]
	global_load_dwordx2 v[7:8], v[7:8], off
	v_add_co_u32_e32 v42, vcc, s14, v29
	global_store_dwordx2 v[32:33], v[3:4], off
	global_load_dwordx2 v[38:39], v[40:41], off
	v_addc_co_u32_e32 v43, vcc, v45, v30, vcc
	global_store_dwordx2 v[5:6], v[36:37], off
	global_store_dwordx2 v[1:2], v[9:10], off
	global_load_dwordx2 v[1:2], v[42:43], off
	s_nop 0
	global_load_dwordx2 v[5:6], v[24:25], off
	v_mov_b32_e32 v10, s11
	v_add_co_u32_e32 v9, vcc, s10, v29
	v_addc_co_u32_e32 v10, vcc, v10, v30, vcc
	global_load_dwordx2 v[9:10], v[9:10], off
	v_mov_b32_e32 v31, s15
	v_mov_b32_e32 v42, s21
	s_cmp_lt_i32 s16, 5
	s_waitcnt vmcnt(8)
	v_mul_f64 v[36:37], v[18:19], v[34:35]
	s_waitcnt vmcnt(5)
	v_fma_f64 v[3:4], -v[3:4], v[7:8], v[38:39]
	s_waitcnt vmcnt(1)
	v_fma_f64 v[1:2], -v[1:2], v[5:6], v[3:4]
	s_waitcnt vmcnt(0)
	v_div_scale_f64 v[3:4], s[0:1], v[9:10], v[9:10], v[1:2]
	v_rcp_f64_e32 v[5:6], v[3:4]
	v_fma_f64 v[7:8], -v[3:4], v[5:6], 1.0
	v_fma_f64 v[5:6], v[5:6], v[7:8], v[5:6]
	v_div_scale_f64 v[7:8], vcc, v[1:2], v[9:10], v[1:2]
	v_fma_f64 v[29:30], -v[3:4], v[5:6], 1.0
	v_fma_f64 v[5:6], v[5:6], v[29:30], v[5:6]
	v_mul_f64 v[29:30], v[7:8], v[5:6]
	v_fma_f64 v[3:4], -v[3:4], v[29:30], v[7:8]
	v_div_fmas_f64 v[3:4], v[3:4], v[5:6], v[29:30]
	v_mad_u64_u32 v[5:6], s[0:1], s17, -3, v[28:29]
	v_add_u32_e32 v6, s5, v13
	v_ashrrev_i32_e32 v7, 31, v6
	v_lshlrev_b64 v[7:8], 3, v[6:7]
	v_ashrrev_i32_e32 v6, 31, v5
	v_lshlrev_b64 v[5:6], 3, v[5:6]
	v_div_fixup_f64 v[1:2], v[3:4], v[9:10], v[1:2]
	v_add_co_u32_e32 v3, vcc, s2, v7
	v_addc_co_u32_e32 v4, vcc, v14, v8, vcc
	v_add_co_u32_e32 v9, vcc, s12, v7
	v_addc_co_u32_e32 v10, vcc, v17, v8, vcc
	v_mul_f64 v[13:14], v[11:12], v[46:47]
	global_store_dwordx2 v[40:41], v[1:2], off
	global_load_dwordx2 v[9:10], v[9:10], off
	v_add_co_u32_e32 v30, vcc, s14, v7
	global_load_dwordx2 v[28:29], v[3:4], off
	v_addc_co_u32_e32 v31, vcc, v31, v8, vcc
	v_fma_f64 v[13:14], v[26:27], v[18:19], v[13:14]
	global_load_dwordx2 v[17:18], v[30:31], off
	global_load_dwordx2 v[26:27], v[24:25], off
	;; [unrolled: 1-line block ×3, first 2 shown]
	v_add_co_u32_e32 v5, vcc, s20, v5
	v_addc_co_u32_e32 v6, vcc, v42, v6, vcc
	global_store_dwordx2 v[22:23], v[13:14], off
	global_store_dwordx2 v[20:21], v[36:37], off
	global_load_dwordx2 v[5:6], v[5:6], off
	v_mov_b32_e32 v13, s11
	v_add_co_u32_e32 v7, vcc, s10, v7
	v_addc_co_u32_e32 v8, vcc, v13, v8, vcc
	global_load_dwordx2 v[7:8], v[7:8], off
	s_waitcnt vmcnt(7)
	v_fma_f64 v[1:2], -v[1:2], v[9:10], v[28:29]
	s_waitcnt vmcnt(4)
	v_fma_f64 v[1:2], -v[17:18], v[38:39], v[1:2]
	;; [unrolled: 2-line block ×3, first 2 shown]
	s_waitcnt vmcnt(0)
	v_div_scale_f64 v[5:6], s[0:1], v[7:8], v[7:8], v[1:2]
	v_div_scale_f64 v[17:18], vcc, v[1:2], v[7:8], v[1:2]
	v_rcp_f64_e32 v[9:10], v[5:6]
	v_fma_f64 v[13:14], -v[5:6], v[9:10], 1.0
	v_fma_f64 v[9:10], v[9:10], v[13:14], v[9:10]
	v_fma_f64 v[13:14], -v[5:6], v[9:10], 1.0
	v_fma_f64 v[9:10], v[9:10], v[13:14], v[9:10]
	v_mul_f64 v[13:14], v[17:18], v[9:10]
	v_fma_f64 v[5:6], -v[5:6], v[13:14], v[17:18]
	v_div_fmas_f64 v[5:6], v[5:6], v[9:10], v[13:14]
	v_mul_f64 v[9:10], v[11:12], v[34:35]
	v_div_fixup_f64 v[1:2], v[5:6], v[7:8], v[1:2]
	v_mov_b32_e32 v6, s23
	v_add_co_u32_e32 v5, vcc, s22, v15
	v_addc_co_u32_e32 v6, vcc, v6, v16, vcc
	global_store_dwordx2 v[5:6], v[9:10], off
	global_store_dwordx2 v[3:4], v[1:2], off
	s_cbranch_scc1 .LBB5_7
; %bb.5:
	s_add_i32 s1, s16, -5
	s_add_i32 s0, s16, -4
	s_mul_i32 s5, s17, s1
	v_add_u32_e32 v1, s5, v0
	s_mul_i32 s5, s18, s0
	v_add_u32_e32 v2, s5, v0
	s_add_i32 s5, s16, -3
	s_mul_i32 s5, s18, s5
	v_add_u32_e32 v3, s5, v0
	s_mul_i32 s5, s18, s24
	s_mul_i32 s1, s18, s1
	v_add_u32_e32 v4, s5, v0
	v_add_u32_e32 v5, s4, v0
	;; [unrolled: 1-line block ×3, first 2 shown]
.LBB5_6:                                ; =>This Inner Loop Header: Depth=1
	v_add_u32_e32 v6, s19, v0
	v_ashrrev_i32_e32 v7, 31, v6
	v_lshlrev_b64 v[6:7], 3, v[6:7]
	v_mov_b32_e32 v32, s3
	v_add_u32_e32 v8, s19, v2
	v_add_co_u32_e32 v18, vcc, s2, v6
	v_ashrrev_i32_e32 v9, 31, v8
	v_addc_co_u32_e32 v19, vcc, v32, v7, vcc
	v_mov_b32_e32 v21, s13
	v_lshlrev_b64 v[8:9], 3, v[8:9]
	v_add_co_u32_e32 v20, vcc, s12, v6
	v_addc_co_u32_e32 v21, vcc, v21, v7, vcc
	v_add_co_u32_e32 v8, vcc, s2, v8
	v_addc_co_u32_e32 v9, vcc, v32, v9, vcc
	global_load_dwordx2 v[24:25], v[18:19], off
	global_load_dwordx2 v[26:27], v[20:21], off
	;; [unrolled: 1-line block ×3, first 2 shown]
	v_add_u32_e32 v10, s19, v3
	v_ashrrev_i32_e32 v11, 31, v10
	v_mov_b32_e32 v23, s15
	v_add_u32_e32 v12, s19, v1
	v_lshlrev_b64 v[10:11], 3, v[10:11]
	v_add_co_u32_e32 v22, vcc, s14, v6
	v_ashrrev_i32_e32 v13, 31, v12
	v_addc_co_u32_e32 v23, vcc, v23, v7, vcc
	v_lshlrev_b64 v[12:13], 3, v[12:13]
	v_add_co_u32_e32 v10, vcc, s2, v10
	v_addc_co_u32_e32 v11, vcc, v32, v11, vcc
	v_mov_b32_e32 v30, s21
	v_add_co_u32_e32 v8, vcc, s20, v12
	v_addc_co_u32_e32 v9, vcc, v30, v13, vcc
	global_load_dwordx2 v[20:21], v[22:23], off
	global_load_dwordx2 v[30:31], v[10:11], off
	v_add_u32_e32 v14, s19, v4
	v_ashrrev_i32_e32 v15, 31, v14
	v_lshlrev_b64 v[14:15], 3, v[14:15]
	v_add_u32_e32 v16, s19, v5
	v_add_co_u32_e32 v10, vcc, s2, v14
	v_addc_co_u32_e32 v11, vcc, v32, v15, vcc
	global_load_dwordx2 v[14:15], v[8:9], off
	global_load_dwordx2 v[22:23], v[10:11], off
	v_ashrrev_i32_e32 v17, 31, v16
	v_mov_b32_e32 v33, s23
	v_lshlrev_b64 v[16:17], 3, v[16:17]
	v_add_co_u32_e32 v12, vcc, s22, v12
	v_addc_co_u32_e32 v13, vcc, v33, v13, vcc
	v_add_co_u32_e32 v8, vcc, s2, v16
	v_addc_co_u32_e32 v9, vcc, v32, v17, vcc
	global_load_dwordx2 v[10:11], v[12:13], off
	global_load_dwordx2 v[16:17], v[8:9], off
	v_mov_b32_e32 v8, s11
	v_add_co_u32_e32 v6, vcc, s10, v6
	v_addc_co_u32_e32 v7, vcc, v8, v7, vcc
	global_load_dwordx2 v[6:7], v[6:7], off
	s_add_i32 s0, s0, -1
	v_subrev_u32_e32 v1, s17, v1
	v_subrev_u32_e32 v2, s18, v2
	;; [unrolled: 1-line block ×6, first 2 shown]
	s_cmp_lg_u32 s0, 0
	s_waitcnt vmcnt(7)
	v_fma_f64 v[8:9], -v[26:27], v[28:29], v[24:25]
	s_waitcnt vmcnt(5)
	v_fma_f64 v[8:9], -v[20:21], v[30:31], v[8:9]
	;; [unrolled: 2-line block ×4, first 2 shown]
	s_waitcnt vmcnt(0)
	v_div_scale_f64 v[10:11], s[4:5], v[6:7], v[6:7], v[8:9]
	v_rcp_f64_e32 v[12:13], v[10:11]
	v_fma_f64 v[14:15], -v[10:11], v[12:13], 1.0
	v_fma_f64 v[12:13], v[12:13], v[14:15], v[12:13]
	v_div_scale_f64 v[14:15], vcc, v[8:9], v[6:7], v[8:9]
	v_fma_f64 v[16:17], -v[10:11], v[12:13], 1.0
	v_fma_f64 v[12:13], v[12:13], v[16:17], v[12:13]
	v_mul_f64 v[16:17], v[14:15], v[12:13]
	v_fma_f64 v[10:11], -v[10:11], v[16:17], v[14:15]
	v_div_fmas_f64 v[10:11], v[10:11], v[12:13], v[16:17]
	v_div_fixup_f64 v[6:7], v[10:11], v[6:7], v[8:9]
	global_store_dwordx2 v[18:19], v[6:7], off
	s_cbranch_scc1 .LBB5_6
.LBB5_7:
	s_endpgm
	.section	.rodata,"a",@progbits
	.p2align	6, 0x0
	.amdhsa_kernel _ZN9rocsparseL39gpsv_interleaved_batch_givens_qr_kernelILj128EdEEviiiPT0_S2_S2_S2_S2_S2_S2_S2_
		.amdhsa_group_segment_fixed_size 0
		.amdhsa_private_segment_fixed_size 0
		.amdhsa_kernarg_size 80
		.amdhsa_user_sgpr_count 6
		.amdhsa_user_sgpr_private_segment_buffer 1
		.amdhsa_user_sgpr_dispatch_ptr 0
		.amdhsa_user_sgpr_queue_ptr 0
		.amdhsa_user_sgpr_kernarg_segment_ptr 1
		.amdhsa_user_sgpr_dispatch_id 0
		.amdhsa_user_sgpr_flat_scratch_init 0
		.amdhsa_user_sgpr_private_segment_size 0
		.amdhsa_uses_dynamic_stack 0
		.amdhsa_system_sgpr_private_segment_wavefront_offset 0
		.amdhsa_system_sgpr_workgroup_id_x 1
		.amdhsa_system_sgpr_workgroup_id_y 0
		.amdhsa_system_sgpr_workgroup_id_z 0
		.amdhsa_system_sgpr_workgroup_info 0
		.amdhsa_system_vgpr_workitem_id 0
		.amdhsa_next_free_vgpr 53
		.amdhsa_next_free_sgpr 26
		.amdhsa_reserve_vcc 1
		.amdhsa_reserve_flat_scratch 0
		.amdhsa_float_round_mode_32 0
		.amdhsa_float_round_mode_16_64 0
		.amdhsa_float_denorm_mode_32 3
		.amdhsa_float_denorm_mode_16_64 3
		.amdhsa_dx10_clamp 1
		.amdhsa_ieee_mode 1
		.amdhsa_fp16_overflow 0
		.amdhsa_exception_fp_ieee_invalid_op 0
		.amdhsa_exception_fp_denorm_src 0
		.amdhsa_exception_fp_ieee_div_zero 0
		.amdhsa_exception_fp_ieee_overflow 0
		.amdhsa_exception_fp_ieee_underflow 0
		.amdhsa_exception_fp_ieee_inexact 0
		.amdhsa_exception_int_div_zero 0
	.end_amdhsa_kernel
	.section	.text._ZN9rocsparseL39gpsv_interleaved_batch_givens_qr_kernelILj128EdEEviiiPT0_S2_S2_S2_S2_S2_S2_S2_,"axG",@progbits,_ZN9rocsparseL39gpsv_interleaved_batch_givens_qr_kernelILj128EdEEviiiPT0_S2_S2_S2_S2_S2_S2_S2_,comdat
.Lfunc_end5:
	.size	_ZN9rocsparseL39gpsv_interleaved_batch_givens_qr_kernelILj128EdEEviiiPT0_S2_S2_S2_S2_S2_S2_S2_, .Lfunc_end5-_ZN9rocsparseL39gpsv_interleaved_batch_givens_qr_kernelILj128EdEEviiiPT0_S2_S2_S2_S2_S2_S2_S2_
                                        ; -- End function
	.set _ZN9rocsparseL39gpsv_interleaved_batch_givens_qr_kernelILj128EdEEviiiPT0_S2_S2_S2_S2_S2_S2_S2_.num_vgpr, 53
	.set _ZN9rocsparseL39gpsv_interleaved_batch_givens_qr_kernelILj128EdEEviiiPT0_S2_S2_S2_S2_S2_S2_S2_.num_agpr, 0
	.set _ZN9rocsparseL39gpsv_interleaved_batch_givens_qr_kernelILj128EdEEviiiPT0_S2_S2_S2_S2_S2_S2_S2_.numbered_sgpr, 26
	.set _ZN9rocsparseL39gpsv_interleaved_batch_givens_qr_kernelILj128EdEEviiiPT0_S2_S2_S2_S2_S2_S2_S2_.num_named_barrier, 0
	.set _ZN9rocsparseL39gpsv_interleaved_batch_givens_qr_kernelILj128EdEEviiiPT0_S2_S2_S2_S2_S2_S2_S2_.private_seg_size, 0
	.set _ZN9rocsparseL39gpsv_interleaved_batch_givens_qr_kernelILj128EdEEviiiPT0_S2_S2_S2_S2_S2_S2_S2_.uses_vcc, 1
	.set _ZN9rocsparseL39gpsv_interleaved_batch_givens_qr_kernelILj128EdEEviiiPT0_S2_S2_S2_S2_S2_S2_S2_.uses_flat_scratch, 0
	.set _ZN9rocsparseL39gpsv_interleaved_batch_givens_qr_kernelILj128EdEEviiiPT0_S2_S2_S2_S2_S2_S2_S2_.has_dyn_sized_stack, 0
	.set _ZN9rocsparseL39gpsv_interleaved_batch_givens_qr_kernelILj128EdEEviiiPT0_S2_S2_S2_S2_S2_S2_S2_.has_recursion, 0
	.set _ZN9rocsparseL39gpsv_interleaved_batch_givens_qr_kernelILj128EdEEviiiPT0_S2_S2_S2_S2_S2_S2_S2_.has_indirect_call, 0
	.section	.AMDGPU.csdata,"",@progbits
; Kernel info:
; codeLenInByte = 3936
; TotalNumSgprs: 30
; NumVgprs: 53
; ScratchSize: 0
; MemoryBound: 0
; FloatMode: 240
; IeeeMode: 1
; LDSByteSize: 0 bytes/workgroup (compile time only)
; SGPRBlocks: 3
; VGPRBlocks: 13
; NumSGPRsForWavesPerEU: 30
; NumVGPRsForWavesPerEU: 53
; Occupancy: 4
; WaveLimiterHint : 0
; COMPUTE_PGM_RSRC2:SCRATCH_EN: 0
; COMPUTE_PGM_RSRC2:USER_SGPR: 6
; COMPUTE_PGM_RSRC2:TRAP_HANDLER: 0
; COMPUTE_PGM_RSRC2:TGID_X_EN: 1
; COMPUTE_PGM_RSRC2:TGID_Y_EN: 0
; COMPUTE_PGM_RSRC2:TGID_Z_EN: 0
; COMPUTE_PGM_RSRC2:TIDIG_COMP_CNT: 0
	.section	.text._ZN9rocsparseL19gpsv_strided_gatherILj256E21rocsparse_complex_numIfEEEviiiPKT0_PS3_,"axG",@progbits,_ZN9rocsparseL19gpsv_strided_gatherILj256E21rocsparse_complex_numIfEEEviiiPKT0_PS3_,comdat
	.globl	_ZN9rocsparseL19gpsv_strided_gatherILj256E21rocsparse_complex_numIfEEEviiiPKT0_PS3_ ; -- Begin function _ZN9rocsparseL19gpsv_strided_gatherILj256E21rocsparse_complex_numIfEEEviiiPKT0_PS3_
	.p2align	8
	.type	_ZN9rocsparseL19gpsv_strided_gatherILj256E21rocsparse_complex_numIfEEEviiiPKT0_PS3_,@function
_ZN9rocsparseL19gpsv_strided_gatherILj256E21rocsparse_complex_numIfEEEviiiPKT0_PS3_: ; @_ZN9rocsparseL19gpsv_strided_gatherILj256E21rocsparse_complex_numIfEEEviiiPKT0_PS3_
; %bb.0:
	s_load_dword s7, s[4:5], 0x2c
	s_load_dwordx4 s[0:3], s[4:5], 0x0
	s_waitcnt lgkmcnt(0)
	s_and_b32 s3, s7, 0xffff
	s_mul_i32 s6, s6, s3
	s_cmp_gt_i32 s0, 0
	v_add_u32_e32 v0, s6, v0
	v_cmp_gt_i32_e32 vcc, s1, v0
	s_cselect_b64 s[6:7], -1, 0
	s_and_b64 s[6:7], vcc, s[6:7]
	s_and_saveexec_b64 s[8:9], s[6:7]
	s_cbranch_execz .LBB6_3
; %bb.1:
	s_load_dwordx4 s[4:7], s[4:5], 0x10
	v_mov_b32_e32 v2, v0
	s_waitcnt lgkmcnt(0)
	v_mov_b32_e32 v4, s5
	v_mov_b32_e32 v5, s7
.LBB6_2:                                ; =>This Inner Loop Header: Depth=1
	v_ashrrev_i32_e32 v1, 31, v0
	v_lshlrev_b64 v[6:7], 3, v[0:1]
	v_ashrrev_i32_e32 v3, 31, v2
	v_add_co_u32_e32 v6, vcc, s4, v6
	v_addc_co_u32_e32 v7, vcc, v4, v7, vcc
	global_load_dwordx2 v[6:7], v[6:7], off
	v_lshlrev_b64 v[8:9], 3, v[2:3]
	s_add_i32 s0, s0, -1
	v_add_co_u32_e32 v8, vcc, s6, v8
	v_add_u32_e32 v2, s1, v2
	s_cmp_lg_u32 s0, 0
	v_addc_co_u32_e32 v9, vcc, v5, v9, vcc
	v_add_u32_e32 v0, s2, v0
	s_waitcnt vmcnt(0)
	global_store_dwordx2 v[8:9], v[6:7], off
	s_cbranch_scc1 .LBB6_2
.LBB6_3:
	s_endpgm
	.section	.rodata,"a",@progbits
	.p2align	6, 0x0
	.amdhsa_kernel _ZN9rocsparseL19gpsv_strided_gatherILj256E21rocsparse_complex_numIfEEEviiiPKT0_PS3_
		.amdhsa_group_segment_fixed_size 0
		.amdhsa_private_segment_fixed_size 0
		.amdhsa_kernarg_size 288
		.amdhsa_user_sgpr_count 6
		.amdhsa_user_sgpr_private_segment_buffer 1
		.amdhsa_user_sgpr_dispatch_ptr 0
		.amdhsa_user_sgpr_queue_ptr 0
		.amdhsa_user_sgpr_kernarg_segment_ptr 1
		.amdhsa_user_sgpr_dispatch_id 0
		.amdhsa_user_sgpr_flat_scratch_init 0
		.amdhsa_user_sgpr_private_segment_size 0
		.amdhsa_uses_dynamic_stack 0
		.amdhsa_system_sgpr_private_segment_wavefront_offset 0
		.amdhsa_system_sgpr_workgroup_id_x 1
		.amdhsa_system_sgpr_workgroup_id_y 0
		.amdhsa_system_sgpr_workgroup_id_z 0
		.amdhsa_system_sgpr_workgroup_info 0
		.amdhsa_system_vgpr_workitem_id 0
		.amdhsa_next_free_vgpr 10
		.amdhsa_next_free_sgpr 10
		.amdhsa_reserve_vcc 1
		.amdhsa_reserve_flat_scratch 0
		.amdhsa_float_round_mode_32 0
		.amdhsa_float_round_mode_16_64 0
		.amdhsa_float_denorm_mode_32 3
		.amdhsa_float_denorm_mode_16_64 3
		.amdhsa_dx10_clamp 1
		.amdhsa_ieee_mode 1
		.amdhsa_fp16_overflow 0
		.amdhsa_exception_fp_ieee_invalid_op 0
		.amdhsa_exception_fp_denorm_src 0
		.amdhsa_exception_fp_ieee_div_zero 0
		.amdhsa_exception_fp_ieee_overflow 0
		.amdhsa_exception_fp_ieee_underflow 0
		.amdhsa_exception_fp_ieee_inexact 0
		.amdhsa_exception_int_div_zero 0
	.end_amdhsa_kernel
	.section	.text._ZN9rocsparseL19gpsv_strided_gatherILj256E21rocsparse_complex_numIfEEEviiiPKT0_PS3_,"axG",@progbits,_ZN9rocsparseL19gpsv_strided_gatherILj256E21rocsparse_complex_numIfEEEviiiPKT0_PS3_,comdat
.Lfunc_end6:
	.size	_ZN9rocsparseL19gpsv_strided_gatherILj256E21rocsparse_complex_numIfEEEviiiPKT0_PS3_, .Lfunc_end6-_ZN9rocsparseL19gpsv_strided_gatherILj256E21rocsparse_complex_numIfEEEviiiPKT0_PS3_
                                        ; -- End function
	.set _ZN9rocsparseL19gpsv_strided_gatherILj256E21rocsparse_complex_numIfEEEviiiPKT0_PS3_.num_vgpr, 10
	.set _ZN9rocsparseL19gpsv_strided_gatherILj256E21rocsparse_complex_numIfEEEviiiPKT0_PS3_.num_agpr, 0
	.set _ZN9rocsparseL19gpsv_strided_gatherILj256E21rocsparse_complex_numIfEEEviiiPKT0_PS3_.numbered_sgpr, 10
	.set _ZN9rocsparseL19gpsv_strided_gatherILj256E21rocsparse_complex_numIfEEEviiiPKT0_PS3_.num_named_barrier, 0
	.set _ZN9rocsparseL19gpsv_strided_gatherILj256E21rocsparse_complex_numIfEEEviiiPKT0_PS3_.private_seg_size, 0
	.set _ZN9rocsparseL19gpsv_strided_gatherILj256E21rocsparse_complex_numIfEEEviiiPKT0_PS3_.uses_vcc, 1
	.set _ZN9rocsparseL19gpsv_strided_gatherILj256E21rocsparse_complex_numIfEEEviiiPKT0_PS3_.uses_flat_scratch, 0
	.set _ZN9rocsparseL19gpsv_strided_gatherILj256E21rocsparse_complex_numIfEEEviiiPKT0_PS3_.has_dyn_sized_stack, 0
	.set _ZN9rocsparseL19gpsv_strided_gatherILj256E21rocsparse_complex_numIfEEEviiiPKT0_PS3_.has_recursion, 0
	.set _ZN9rocsparseL19gpsv_strided_gatherILj256E21rocsparse_complex_numIfEEEviiiPKT0_PS3_.has_indirect_call, 0
	.section	.AMDGPU.csdata,"",@progbits
; Kernel info:
; codeLenInByte = 168
; TotalNumSgprs: 14
; NumVgprs: 10
; ScratchSize: 0
; MemoryBound: 0
; FloatMode: 240
; IeeeMode: 1
; LDSByteSize: 0 bytes/workgroup (compile time only)
; SGPRBlocks: 1
; VGPRBlocks: 2
; NumSGPRsForWavesPerEU: 14
; NumVGPRsForWavesPerEU: 10
; Occupancy: 10
; WaveLimiterHint : 0
; COMPUTE_PGM_RSRC2:SCRATCH_EN: 0
; COMPUTE_PGM_RSRC2:USER_SGPR: 6
; COMPUTE_PGM_RSRC2:TRAP_HANDLER: 0
; COMPUTE_PGM_RSRC2:TGID_X_EN: 1
; COMPUTE_PGM_RSRC2:TGID_Y_EN: 0
; COMPUTE_PGM_RSRC2:TGID_Z_EN: 0
; COMPUTE_PGM_RSRC2:TIDIG_COMP_CNT: 0
	.section	.text._ZN9rocsparseL44gpsv_interleaved_batch_householder_qr_kernelILj256E21rocsparse_complex_numIfEEEviiiPT0_S4_S4_S4_S4_S4_S4_S4_S4_,"axG",@progbits,_ZN9rocsparseL44gpsv_interleaved_batch_householder_qr_kernelILj256E21rocsparse_complex_numIfEEEviiiPT0_S4_S4_S4_S4_S4_S4_S4_S4_,comdat
	.globl	_ZN9rocsparseL44gpsv_interleaved_batch_householder_qr_kernelILj256E21rocsparse_complex_numIfEEEviiiPT0_S4_S4_S4_S4_S4_S4_S4_S4_ ; -- Begin function _ZN9rocsparseL44gpsv_interleaved_batch_householder_qr_kernelILj256E21rocsparse_complex_numIfEEEviiiPT0_S4_S4_S4_S4_S4_S4_S4_S4_
	.p2align	8
	.type	_ZN9rocsparseL44gpsv_interleaved_batch_householder_qr_kernelILj256E21rocsparse_complex_numIfEEEviiiPT0_S4_S4_S4_S4_S4_S4_S4_S4_,@function
_ZN9rocsparseL44gpsv_interleaved_batch_householder_qr_kernelILj256E21rocsparse_complex_numIfEEEviiiPT0_S4_S4_S4_S4_S4_S4_S4_S4_: ; @_ZN9rocsparseL44gpsv_interleaved_batch_householder_qr_kernelILj256E21rocsparse_complex_numIfEEEviiiPT0_S4_S4_S4_S4_S4_S4_S4_S4_
; %bb.0:
	s_load_dword s0, s[4:5], 0x64
	s_load_dwordx4 s[8:11], s[4:5], 0x0
	s_waitcnt lgkmcnt(0)
	s_and_b32 s0, s0, 0xffff
	s_mul_i32 s11, s6, s0
	v_add_u32_e32 v59, s11, v0
	v_cmp_gt_i32_e32 vcc, s9, v59
	s_and_saveexec_b64 s[0:1], vcc
	s_cbranch_execz .LBB7_36
; %bb.1:
	s_load_dwordx2 s[6:7], s[4:5], 0x50
	s_load_dwordx4 s[12:15], s[4:5], 0x40
	s_load_dwordx4 s[16:19], s[4:5], 0x20
	s_load_dwordx2 s[20:21], s[4:5], 0x30
	s_cmp_lt_i32 s8, 2
	s_cbranch_scc1 .LBB7_23
; %bb.2:
	s_load_dwordx2 s[22:23], s[4:5], 0x18
	s_add_i32 s33, s8, -2
	s_cmp_eq_u32 s33, 0
	s_mov_b32 s2, 0
	s_cbranch_scc1 .LBB7_14
; %bb.3:
	s_load_dwordx2 s[24:25], s[4:5], 0x10
	v_add_u32_e32 v60, s9, v0
	v_lshl_add_u32 v61, s9, 1, v0
	v_lshl_add_u32 v62, s10, 1, v0
	v_add_u32_e32 v63, s10, v0
	s_mov_b32 s34, 0
	s_waitcnt lgkmcnt(0)
	v_mov_b32_e32 v64, s23
	v_mov_b32_e32 v65, s25
	s_mov_b32 s25, 0xf800000
	v_mov_b32_e32 v66, 0x260
	v_mov_b32_e32 v67, v0
	;; [unrolled: 1-line block ×3, first 2 shown]
	s_branch .LBB7_6
.LBB7_4:                                ;   in Loop: Header=BB7_6 Depth=1
	s_or_b64 exec, exec, s[28:29]
	v_add_f32_e32 v54, v53, v58
	v_mul_f32_e32 v54, 0.5, v54
	v_mul_f32_e32 v57, 0x4f800000, v54
	v_cmp_gt_f32_e32 vcc, s25, v54
	v_cndmask_b32_e32 v54, v54, v57, vcc
	v_sqrt_f32_e32 v57, v54
	v_sub_f32_e32 v53, v58, v53
	v_mul_f32_e32 v53, 0.5, v53
	v_mul_f32_e32 v58, 0x4f800000, v53
	v_add_u32_e32 v69, -1, v57
	v_add_u32_e32 v70, 1, v57
	v_fma_f32 v71, -v69, v57, v54
	v_fma_f32 v72, -v70, v57, v54
	v_cmp_ge_f32_e64 s[2:3], 0, v71
	v_cndmask_b32_e64 v57, v57, v69, s[2:3]
	v_cmp_lt_f32_e64 s[2:3], 0, v72
	v_cndmask_b32_e64 v57, v57, v70, s[2:3]
	v_cmp_gt_f32_e64 s[2:3], s25, v53
	v_cndmask_b32_e64 v53, v53, v58, s[2:3]
	v_sqrt_f32_e32 v58, v53
	v_mul_f32_e32 v69, 0x37800000, v57
	v_cndmask_b32_e32 v57, v57, v69, vcc
	v_cmp_class_f32_e32 vcc, v54, v66
	v_cndmask_b32_e32 v54, v57, v54, vcc
	v_add_u32_e32 v57, -1, v58
	v_fma_f32 v69, -v57, v58, v53
	v_cmp_ge_f32_e32 vcc, 0, v69
	v_add_u32_e32 v69, 1, v58
	v_cndmask_b32_e32 v57, v58, v57, vcc
	v_fma_f32 v58, -v69, v58, v53
	v_cmp_lt_f32_e32 vcc, 0, v58
	v_cndmask_b32_e32 v57, v57, v69, vcc
	v_mul_f32_e32 v58, 0x37800000, v57
	v_cndmask_b32_e64 v57, v57, v58, s[2:3]
	v_cmp_class_f32_e32 vcc, v53, v66
	v_cndmask_b32_e32 v53, v57, v53, vcc
	v_cndmask_b32_e64 v53, v53, -v53, s[0:1]
	v_cmp_lt_f32_e32 vcc, 0, v47
	v_cndmask_b32_e64 v53, -v53, v53, vcc
	v_cndmask_b32_e64 v54, -v54, v54, vcc
	v_add_f32_e32 v70, v48, v53
	v_add_f32_e32 v69, v47, v54
	v_mul_f32_e32 v53, v70, v70
	v_fmac_f32_e32 v53, v69, v69
	v_div_scale_f32 v54, s[0:1], v53, v53, 1.0
	v_div_scale_f32 v57, vcc, 1.0, v53, 1.0
	v_mul_f32_e32 v76, v69, v70
	v_mul_f32_e64 v75, v70, -v70
	v_fmac_f32_e32 v76, v70, v69
	v_fmac_f32_e32 v75, v69, v69
	v_add_f32_e32 v78, v51, v76
	v_add_f32_e32 v77, v52, v75
	v_mul_f32_e32 v79, v78, v78
	v_fmac_f32_e32 v79, v77, v77
	v_div_scale_f32 v80, s[0:1], v79, v79, 1.0
	v_div_scale_f32 v81, s[0:1], 1.0, v79, 1.0
	v_rcp_f32_e32 v58, v54
	v_fma_f32 v51, -v54, v58, 1.0
	v_fmac_f32_e32 v58, v51, v58
	v_mul_f32_e32 v51, v57, v58
	v_fma_f32 v52, -v54, v51, v57
	v_fmac_f32_e32 v51, v52, v58
	v_fma_f32 v52, -v54, v51, v57
	v_div_fmas_f32 v54, v52, v58, v51
	v_add_u32_e32 v51, s11, v68
	v_ashrrev_i32_e32 v52, 31, v51
	v_lshlrev_b64 v[57:58], 3, v[51:52]
	v_rcp_f32_e32 v52, v80
	v_mov_b32_e32 v51, s13
	v_add_co_u32_e32 v71, vcc, s12, v57
	v_addc_co_u32_e32 v72, vcc, v51, v58, vcc
	v_fma_f32 v51, -v80, v52, 1.0
	v_fmac_f32_e32 v52, v51, v52
	v_mul_f32_e32 v51, v81, v52
	v_fma_f32 v73, -v80, v51, v81
	v_fmac_f32_e32 v51, v73, v52
	global_load_dwordx2 v[73:74], v[71:72], off
	v_fma_f32 v80, -v80, v51, v81
	s_mov_b64 vcc, s[0:1]
	v_div_fmas_f32 v80, v80, v52, v51
	v_mul_f32_e64 v51, v70, -v43
	v_fmac_f32_e32 v51, v44, v69
	v_div_fixup_f32 v52, v54, v53, 1.0
	v_mul_f32_e32 v81, v70, v44
	v_mul_f32_e32 v54, v51, v52
	;; [unrolled: 1-line block ×3, first 2 shown]
	v_mul_f32_e64 v70, v70, -v41
	v_fmac_f32_e32 v81, v43, v69
	v_fmac_f32_e32 v51, v41, v69
	;; [unrolled: 1-line block ×3, first 2 shown]
	v_mul_f32_e32 v53, v81, v52
	v_mul_f32_e32 v51, v51, v52
	;; [unrolled: 1-line block ×3, first 2 shown]
	v_add_f32_e32 v70, v76, v76
	v_mul_f32_e32 v69, 0x80000000, v76
	v_fmac_f32_e32 v70, 0, v75
	v_fmac_f32_e32 v69, 2.0, v75
	v_mul_f32_e32 v76, v78, v70
	v_fmac_f32_e32 v76, v69, v77
	v_mul_f32_e64 v69, v78, -v69
	v_div_fixup_f32 v75, v80, v79, 1.0
	v_fmac_f32_e32 v69, v70, v77
	v_mul_f32_e32 v79, v75, v76
	v_mul_f32_e32 v80, v69, v75
	global_load_dwordx2 v[75:76], v[45:46], off
	v_mov_b32_e32 v69, s13
	v_add_co_u32_e32 v55, vcc, s12, v55
	v_addc_co_u32_e32 v56, vcc, v69, v56, vcc
	v_mov_b32_e32 v81, s19
	v_fma_f32 v47, v53, v43, v47
	v_fma_f32 v47, -v54, v44, v47
	v_fmac_f32_e32 v47, v51, v41
	v_fmac_f32_e32 v48, v54, v43
	v_fma_f32 v43, -v52, v42, v47
	v_fmac_f32_e32 v48, v53, v44
	v_fmac_f32_e32 v48, v52, v41
	;; [unrolled: 1-line block ×3, first 2 shown]
	v_mul_f32_e32 v42, v80, v43
	v_fmac_f32_e32 v42, v48, v79
	s_waitcnt vmcnt(1)
	v_fma_f32 v77, v54, v33, v74
	v_fma_f32 v69, v53, v33, v73
	v_fmac_f32_e32 v77, v53, v34
	v_fma_f32 v69, -v54, v34, v69
	v_fmac_f32_e32 v77, v52, v17
	v_fmac_f32_e32 v69, v51, v17
	;; [unrolled: 1-line block ×3, first 2 shown]
	v_fma_f32 v70, -v52, v18, v69
	v_mul_f32_e64 v69, v80, -v77
	v_fmac_f32_e32 v69, v70, v79
	v_mul_f32_e32 v70, v80, v70
	v_fmac_f32_e32 v70, v77, v79
	v_sub_f32_e32 v73, v73, v69
	v_sub_f32_e32 v74, v74, v70
	global_load_dwordx2 v[77:78], v[55:56], off
	s_waitcnt vmcnt(1)
	v_sub_f32_e32 v42, v76, v42
	global_store_dwordx2 v[71:72], v[73:74], off
	v_add_co_u32_e32 v71, vcc, s18, v49
	v_addc_co_u32_e32 v72, vcc, v81, v50, vcc
	v_mov_b32_e32 v73, s21
	v_add_co_u32_e32 v49, vcc, s20, v49
	v_fma_f32 v74, v54, v53, 0
	v_addc_co_u32_e32 v50, vcc, v73, v50, vcc
	v_fma_f32 v73, v53, v53, 1.0
	v_fmac_f32_e32 v74, v53, v54
	v_fma_f32 v73, -v54, v54, v73
	v_fmac_f32_e32 v74, v52, v51
	v_fmac_f32_e32 v73, v51, v51
	;; [unrolled: 1-line block ×3, first 2 shown]
	v_fma_f32 v73, -v52, v52, v73
	v_mul_f32_e32 v81, v74, v74
	v_fmac_f32_e32 v81, v73, v73
	v_div_scale_f32 v82, s[0:1], v81, v81, 1.0
	v_rcp_f32_e32 v47, v82
	v_fma_f32 v41, -v82, v47, 1.0
	v_fmac_f32_e32 v47, v41, v47
	v_mul_f32_e64 v41, v80, -v48
	v_div_scale_f32 v48, vcc, 1.0, v81, 1.0
	v_fmac_f32_e32 v41, v43, v79
	v_sub_f32_e32 v41, v75, v41
	global_store_dwordx2 v[45:46], v[41:42], off
	v_mul_f32_e32 v75, v48, v47
	v_fma_f32 v43, -v82, v75, v48
	v_fmac_f32_e32 v75, v43, v47
	global_load_dwordx2 v[43:44], v[71:72], off
	v_fma_f32 v48, -v82, v75, v48
	s_waitcnt vmcnt(0)
	v_fma_f32 v41, v53, v27, v43
	v_fma_f32 v42, v54, v27, v44
	v_fma_f32 v41, -v54, v28, v41
	v_fmac_f32_e32 v42, v53, v28
	v_fmac_f32_e32 v41, v51, v23
	;; [unrolled: 1-line block ×3, first 2 shown]
	v_fma_f32 v41, -v52, v24, v41
	v_fmac_f32_e32 v42, v51, v24
	v_mul_f32_e64 v76, v80, -v42
	v_mul_f32_e32 v83, v80, v41
	v_fmac_f32_e32 v76, v41, v79
	v_fmac_f32_e32 v83, v42, v79
	v_sub_f32_e32 v41, v43, v76
	v_sub_f32_e32 v42, v44, v83
	global_store_dwordx2 v[71:72], v[41:42], off
	v_mov_b32_e32 v42, s15
	v_add_co_u32_e64 v41, s[0:1], s14, v57
	v_addc_co_u32_e64 v42, s[0:1], v42, v58, s[0:1]
	global_load_dwordx2 v[43:44], v[49:50], off
	global_load_dwordx2 v[45:46], v[41:42], off
	v_div_fmas_f32 v71, v48, v47, v75
	v_mov_b32_e32 v48, s7
	v_add_co_u32_e32 v47, vcc, s6, v57
	v_addc_co_u32_e32 v48, vcc, v48, v58, vcc
	global_load_dwordx2 v[57:58], v[47:48], off
	v_mul_f32_e32 v72, 0, v74
	v_mul_f32_e32 v74, -2.0, v74
	v_fmac_f32_e32 v72, 2.0, v73
	v_fmac_f32_e32 v74, 0, v73
	v_div_fixup_f32 v71, v71, v81, 1.0
	v_mul_f32_e32 v72, v72, v71
	v_mul_f32_e32 v71, v74, v71
	s_waitcnt vmcnt(2)
	v_fma_f32 v73, v53, v31, v43
	s_waitcnt vmcnt(1)
	v_fma_f32 v74, v53, v77, v45
	v_fma_f32 v75, v54, v77, v46
	;; [unrolled: 1-line block ×3, first 2 shown]
	v_fmac_f32_e32 v77, v53, v32
	v_fma_f32 v73, -v54, v32, v73
	v_fmac_f32_e32 v77, v52, v21
	v_fmac_f32_e32 v75, v53, v78
	;; [unrolled: 1-line block ×4, first 2 shown]
	v_fma_f32 v74, -v54, v78, v74
	v_fma_f32 v73, -v52, v22, v73
	v_mul_f32_e64 v78, v80, -v77
	v_fmac_f32_e32 v75, v52, v39
	v_fmac_f32_e32 v78, v73, v79
	v_mul_f32_e32 v73, v80, v73
	v_fmac_f32_e32 v74, v51, v39
	v_fmac_f32_e32 v75, v51, v40
	;; [unrolled: 1-line block ×3, first 2 shown]
	v_fma_f32 v74, -v52, v40, v74
	v_mul_f32_e64 v77, v80, -v75
	v_fmac_f32_e32 v77, v74, v79
	v_mul_f32_e32 v74, v80, v74
	v_fmac_f32_e32 v74, v75, v79
	s_waitcnt vmcnt(0)
	v_fma_f32 v79, v54, v29, v58
	v_fma_f32 v75, v53, v29, v57
	v_fmac_f32_e32 v79, v53, v30
	v_fma_f32 v75, -v54, v30, v75
	v_fmac_f32_e32 v79, v52, v37
	v_fmac_f32_e32 v75, v51, v37
	;; [unrolled: 1-line block ×3, first 2 shown]
	v_fma_f32 v75, -v52, v38, v75
	v_mul_f32_e64 v80, v71, -v79
	v_fmac_f32_e32 v80, v75, v72
	v_mul_f32_e32 v75, v71, v75
	v_fmac_f32_e32 v75, v79, v72
	global_load_dwordx2 v[71:72], v[55:56], off
	v_sub_f32_e32 v43, v43, v78
	v_sub_f32_e32 v44, v44, v73
	global_store_dwordx2 v[49:50], v[43:44], off
	v_sub_f32_e32 v43, v45, v77
	v_sub_f32_e32 v44, v46, v74
	global_store_dwordx2 v[41:42], v[43:44], off
	;; [unrolled: 3-line block ×3, first 2 shown]
	global_store_dwordx2 v[3:4], v[53:54], off
	v_fma_f32 v3, -v76, v53, v27
	v_fma_f32 v4, -v83, v53, v28
	v_fmac_f32_e32 v3, v83, v54
	v_fma_f32 v4, -v76, v54, v4
	global_store_dwordx2 v[15:16], v[3:4], off
	v_fma_f32 v3, -v78, v53, v31
	v_fma_f32 v4, -v73, v53, v32
	v_fmac_f32_e32 v3, v73, v54
	v_fma_f32 v4, -v78, v54, v4
	;; [unrolled: 5-line block ×3, first 2 shown]
	global_store_dwordx2 v[25:26], v[3:4], off
	s_waitcnt vmcnt(7)
	v_fma_f32 v3, -v77, v53, v71
	v_fma_f32 v4, -v74, v53, v72
	v_fmac_f32_e32 v3, v74, v54
	v_fma_f32 v4, -v77, v54, v4
	global_store_dwordx2 v[55:56], v[3:4], off
	v_fma_f32 v3, -v53, v80, v29
	v_fma_f32 v4, -v54, v80, v30
	v_fmac_f32_e32 v3, v54, v75
	v_fma_f32 v4, -v53, v75, v4
	global_store_dwordx2 v[13:14], v[3:4], off
	global_store_dwordx2 v[1:2], v[51:52], off
	v_fma_f32 v1, -v76, v51, v23
	v_fma_f32 v2, -v83, v51, v24
	v_fmac_f32_e32 v1, v83, v52
	v_fma_f32 v2, -v76, v52, v2
	global_store_dwordx2 v[11:12], v[1:2], off
	v_fma_f32 v1, -v78, v51, v21
	v_fma_f32 v2, -v73, v51, v22
	v_fmac_f32_e32 v1, v73, v52
	v_fma_f32 v2, -v78, v52, v2
	;; [unrolled: 5-line block ×5, first 2 shown]
	global_store_dwordx2 v[35:36], v[1:2], off
.LBB7_5:                                ;   in Loop: Header=BB7_6 Depth=1
	s_or_b64 exec, exec, s[26:27]
	s_add_i32 s34, s34, 1
	v_add_u32_e32 v60, s9, v60
	v_add_u32_e32 v61, s9, v61
	;; [unrolled: 1-line block ×5, first 2 shown]
	s_cmp_eq_u32 s33, s34
	v_add_u32_e32 v67, s10, v67
	s_cbranch_scc1 .LBB7_13
.LBB7_6:                                ; =>This Inner Loop Header: Depth=1
	v_add_u32_e32 v3, s11, v62
	v_ashrrev_i32_e32 v4, 31, v3
	v_add_u32_e32 v1, s11, v63
	v_lshlrev_b64 v[5:6], 3, v[3:4]
	v_ashrrev_i32_e32 v2, 31, v1
	v_lshlrev_b64 v[7:8], 3, v[1:2]
	v_add_co_u32_e32 v1, vcc, s24, v5
	v_addc_co_u32_e32 v2, vcc, v65, v6, vcc
	global_load_dwordx2 v[41:42], v[1:2], off
	v_add_co_u32_e32 v3, vcc, s22, v7
	v_addc_co_u32_e32 v4, vcc, v64, v8, vcc
	global_load_dwordx2 v[43:44], v[3:4], off
	s_waitcnt vmcnt(1)
	v_mul_f32_e64 v9, v42, -v42
	v_mul_f32_e32 v51, v41, v42
	v_fmac_f32_e32 v9, v41, v41
	v_fmac_f32_e32 v51, v42, v41
	s_waitcnt vmcnt(0)
	v_fmac_f32_e32 v9, v43, v43
	v_fmac_f32_e32 v51, v44, v43
	v_fma_f32 v52, -v44, v44, v9
	v_fmac_f32_e32 v51, v43, v44
	v_cmp_neq_f32_e32 vcc, 0, v52
	v_cmp_neq_f32_e64 s[0:1], 0, v51
	s_or_b64 s[0:1], vcc, s[0:1]
	s_and_saveexec_b64 s[26:27], s[0:1]
	s_cbranch_execz .LBB7_5
; %bb.7:                                ;   in Loop: Header=BB7_6 Depth=1
	v_mov_b32_e32 v10, s17
	v_add_co_u32_e32 v15, vcc, s16, v7
	v_addc_co_u32_e32 v16, vcc, v10, v8, vcc
	v_mov_b32_e32 v10, s19
	v_add_co_u32_e32 v19, vcc, s18, v7
	v_addc_co_u32_e32 v20, vcc, v10, v8, vcc
	v_add_u32_e32 v9, s11, v60
	v_mov_b32_e32 v10, s21
	v_add_co_u32_e32 v25, vcc, s20, v7
	v_addc_co_u32_e32 v26, vcc, v10, v8, vcc
	v_ashrrev_i32_e32 v10, 31, v9
	v_lshlrev_b64 v[55:56], 3, v[9:10]
	v_mov_b32_e32 v7, s7
	v_add_co_u32_e32 v13, vcc, s6, v55
	v_addc_co_u32_e32 v14, vcc, v7, v56, vcc
	v_mov_b32_e32 v7, s23
	v_add_co_u32_e32 v11, vcc, s22, v5
	v_addc_co_u32_e32 v12, vcc, v7, v6, vcc
	;; [unrolled: 3-line block ×5, first 2 shown]
	v_add_u32_e32 v36, s11, v67
	v_ashrrev_i32_e32 v37, 31, v36
	v_lshlrev_b64 v[49:50], 3, v[36:37]
	v_add_u32_e32 v35, s11, v61
	v_mov_b32_e32 v36, s17
	v_add_co_u32_e32 v45, vcc, s16, v49
	v_addc_co_u32_e32 v46, vcc, v36, v50, vcc
	v_ashrrev_i32_e32 v36, 31, v35
	global_load_dwordx2 v[27:28], v[15:16], off
	global_load_dwordx2 v[31:32], v[19:20], off
	;; [unrolled: 1-line block ×9, first 2 shown]
	v_lshlrev_b64 v[35:36], 3, v[35:36]
	v_mov_b32_e32 v37, s7
	v_add_co_u32_e32 v35, vcc, s6, v35
	v_addc_co_u32_e32 v36, vcc, v37, v36, vcc
	global_load_dwordx2 v[37:38], v[35:36], off
                                        ; implicit-def: $vgpr58
	s_waitcnt vmcnt(2)
	v_fma_f32 v53, v47, v47, v52
	v_fma_f32 v69, v48, v47, v51
	v_fma_f32 v53, -v48, v48, v53
	v_fmac_f32_e32 v69, v47, v48
	v_cmp_gt_f32_e32 vcc, 0, v53
	v_cmp_gt_f32_e64 s[0:1], 0, v69
	v_cndmask_b32_e64 v54, v53, -v53, vcc
	v_cndmask_b32_e64 v57, v69, -v69, s[0:1]
	v_cmp_ngt_f32_e32 vcc, v54, v57
	s_and_saveexec_b64 s[2:3], vcc
	s_xor_b64 s[28:29], exec, s[2:3]
	s_cbranch_execz .LBB7_11
; %bb.8:                                ;   in Loop: Header=BB7_6 Depth=1
	v_mov_b32_e32 v58, 0
	v_cmp_neq_f32_e32 vcc, 0, v69
	s_and_saveexec_b64 s[30:31], vcc
	s_cbranch_execz .LBB7_10
; %bb.9:                                ;   in Loop: Header=BB7_6 Depth=1
	v_div_scale_f32 v58, s[2:3], v57, v57, v54
	v_div_scale_f32 v69, vcc, v54, v57, v54
	v_rcp_f32_e32 v70, v58
	v_fma_f32 v71, -v58, v70, 1.0
	v_fmac_f32_e32 v70, v71, v70
	v_mul_f32_e32 v71, v69, v70
	v_fma_f32 v72, -v58, v71, v69
	v_fmac_f32_e32 v71, v72, v70
	v_fma_f32 v58, -v58, v71, v69
	v_div_fmas_f32 v58, v58, v70, v71
	v_div_fixup_f32 v54, v58, v57, v54
	v_fma_f32 v54, v54, v54, 1.0
	v_mul_f32_e32 v58, 0x4f800000, v54
	v_cmp_gt_f32_e32 vcc, s25, v54
	v_cndmask_b32_e32 v54, v54, v58, vcc
	v_sqrt_f32_e32 v58, v54
	v_add_u32_e32 v69, -1, v58
	v_add_u32_e32 v70, 1, v58
	v_fma_f32 v71, -v69, v58, v54
	v_fma_f32 v72, -v70, v58, v54
	v_cmp_ge_f32_e64 s[2:3], 0, v71
	v_cndmask_b32_e64 v58, v58, v69, s[2:3]
	v_cmp_lt_f32_e64 s[2:3], 0, v72
	v_cndmask_b32_e64 v58, v58, v70, s[2:3]
	v_mul_f32_e32 v69, 0x37800000, v58
	v_cndmask_b32_e32 v58, v58, v69, vcc
	v_cmp_class_f32_e32 vcc, v54, v66
	v_cndmask_b32_e32 v54, v58, v54, vcc
	v_mul_f32_e32 v58, v57, v54
.LBB7_10:                               ;   in Loop: Header=BB7_6 Depth=1
	s_or_b64 exec, exec, s[30:31]
                                        ; implicit-def: $vgpr54
                                        ; implicit-def: $vgpr57
.LBB7_11:                               ;   in Loop: Header=BB7_6 Depth=1
	s_andn2_saveexec_b64 s[28:29], s[28:29]
	s_cbranch_execz .LBB7_4
; %bb.12:                               ;   in Loop: Header=BB7_6 Depth=1
	v_div_scale_f32 v58, s[2:3], v54, v54, v57
	v_div_scale_f32 v69, vcc, v57, v54, v57
	v_rcp_f32_e32 v70, v58
	v_fma_f32 v71, -v58, v70, 1.0
	v_fmac_f32_e32 v70, v71, v70
	v_mul_f32_e32 v71, v69, v70
	v_fma_f32 v72, -v58, v71, v69
	v_fmac_f32_e32 v71, v72, v70
	v_fma_f32 v58, -v58, v71, v69
	v_div_fmas_f32 v58, v58, v70, v71
	v_div_fixup_f32 v57, v58, v54, v57
	v_fma_f32 v57, v57, v57, 1.0
	v_mul_f32_e32 v58, 0x4f800000, v57
	v_cmp_gt_f32_e32 vcc, s25, v57
	v_cndmask_b32_e32 v57, v57, v58, vcc
	v_sqrt_f32_e32 v58, v57
	v_add_u32_e32 v69, -1, v58
	v_add_u32_e32 v70, 1, v58
	v_fma_f32 v71, -v69, v58, v57
	v_fma_f32 v72, -v70, v58, v57
	v_cmp_ge_f32_e64 s[2:3], 0, v71
	v_cndmask_b32_e64 v58, v58, v69, s[2:3]
	v_cmp_lt_f32_e64 s[2:3], 0, v72
	v_cndmask_b32_e64 v58, v58, v70, s[2:3]
	v_mul_f32_e32 v69, 0x37800000, v58
	v_cndmask_b32_e32 v58, v58, v69, vcc
	v_cmp_class_f32_e32 vcc, v57, v66
	v_cndmask_b32_e32 v57, v58, v57, vcc
	v_mul_f32_e32 v58, v54, v57
	s_branch .LBB7_4
.LBB7_13:
	s_mov_b32 s2, s33
.LBB7_14:
	s_mul_i32 s0, s2, s10
	v_add_u32_e32 v13, s0, v59
	v_add_u32_e32 v1, s10, v13
	v_ashrrev_i32_e32 v2, 31, v1
	v_lshlrev_b64 v[7:8], 3, v[1:2]
	s_waitcnt lgkmcnt(0)
	v_mov_b32_e32 v2, s23
	v_add_co_u32_e32 v1, vcc, s22, v7
	v_addc_co_u32_e32 v2, vcc, v2, v8, vcc
	global_load_dwordx2 v[19:20], v[1:2], off
	s_waitcnt vmcnt(0)
	v_fma_f32 v3, v19, v19, 0
	v_fma_f32 v30, v20, v19, 0
	v_fma_f32 v31, -v20, v20, v3
	v_fmac_f32_e32 v30, v19, v20
	v_cmp_neq_f32_e32 vcc, 0, v31
	v_cmp_neq_f32_e64 s[0:1], 0, v30
	s_or_b64 s[0:1], vcc, s[0:1]
	s_and_saveexec_b64 s[22:23], s[0:1]
	s_cbranch_execz .LBB7_22
; %bb.15:
	v_mov_b32_e32 v4, s17
	v_add_co_u32_e32 v3, vcc, s16, v7
	v_addc_co_u32_e32 v4, vcc, v4, v8, vcc
	v_mov_b32_e32 v6, s19
	v_add_co_u32_e32 v5, vcc, s18, v7
	v_addc_co_u32_e32 v6, vcc, v6, v8, vcc
	;; [unrolled: 3-line block ×3, first 2 shown]
	v_ashrrev_i32_e32 v14, 31, v13
	s_mul_i32 s0, s2, s9
	v_lshlrev_b64 v[28:29], 3, v[13:14]
	v_add_u32_e32 v27, s0, v59
	v_add_u32_e32 v15, s9, v27
	v_mov_b32_e32 v13, s17
	v_add_co_u32_e32 v21, vcc, s16, v28
	v_addc_co_u32_e32 v22, vcc, v13, v29, vcc
	v_ashrrev_i32_e32 v16, 31, v15
	global_load_dwordx2 v[9:10], v[3:4], off
	global_load_dwordx2 v[11:12], v[5:6], off
	;; [unrolled: 1-line block ×4, first 2 shown]
	v_lshlrev_b64 v[23:24], 3, v[15:16]
	v_mov_b32_e32 v14, s7
	v_add_co_u32_e32 v13, vcc, s6, v23
	v_addc_co_u32_e32 v14, vcc, v14, v24, vcc
	global_load_dwordx2 v[15:16], v[13:14], off
                                        ; implicit-def: $vgpr33
	s_waitcnt vmcnt(2)
	v_fma_f32 v32, v25, v25, v31
	v_fma_f32 v36, v26, v25, v30
	v_fma_f32 v32, -v26, v26, v32
	v_fmac_f32_e32 v36, v25, v26
	v_cmp_gt_f32_e32 vcc, 0, v32
	v_cmp_gt_f32_e64 s[0:1], 0, v36
	v_cndmask_b32_e64 v34, v32, -v32, vcc
	v_cndmask_b32_e64 v35, v36, -v36, s[0:1]
	v_cmp_ngt_f32_e32 vcc, v34, v35
	s_and_saveexec_b64 s[2:3], vcc
	s_xor_b64 s[24:25], exec, s[2:3]
	s_cbranch_execz .LBB7_19
; %bb.16:
	v_mov_b32_e32 v33, 0
	v_cmp_neq_f32_e32 vcc, 0, v36
	s_and_saveexec_b64 s[26:27], vcc
	s_cbranch_execz .LBB7_18
; %bb.17:
	v_div_scale_f32 v33, s[2:3], v35, v35, v34
	s_mov_b32 s2, 0xf800000
	v_rcp_f32_e32 v36, v33
	v_fma_f32 v37, -v33, v36, 1.0
	v_fmac_f32_e32 v36, v37, v36
	v_div_scale_f32 v37, vcc, v34, v35, v34
	v_mul_f32_e32 v38, v37, v36
	v_fma_f32 v39, -v33, v38, v37
	v_fmac_f32_e32 v38, v39, v36
	v_fma_f32 v33, -v33, v38, v37
	v_div_fmas_f32 v33, v33, v36, v38
	v_div_fixup_f32 v33, v33, v35, v34
	v_fma_f32 v33, v33, v33, 1.0
	v_cmp_gt_f32_e32 vcc, s2, v33
	v_mul_f32_e32 v34, 0x4f800000, v33
	v_cndmask_b32_e32 v33, v33, v34, vcc
	v_sqrt_f32_e32 v34, v33
	v_add_u32_e32 v36, -1, v34
	v_fma_f32 v37, -v36, v34, v33
	v_cmp_ge_f32_e64 s[2:3], 0, v37
	v_add_u32_e32 v37, 1, v34
	v_cndmask_b32_e64 v36, v34, v36, s[2:3]
	v_fma_f32 v34, -v37, v34, v33
	v_cmp_lt_f32_e64 s[2:3], 0, v34
	v_cndmask_b32_e64 v34, v36, v37, s[2:3]
	v_mul_f32_e32 v36, 0x37800000, v34
	v_cndmask_b32_e32 v34, v34, v36, vcc
	v_mov_b32_e32 v36, 0x260
	v_cmp_class_f32_e32 vcc, v33, v36
	v_cndmask_b32_e32 v33, v34, v33, vcc
	v_mul_f32_e32 v33, v35, v33
.LBB7_18:
	s_or_b64 exec, exec, s[26:27]
                                        ; implicit-def: $vgpr34
                                        ; implicit-def: $vgpr35
.LBB7_19:
	s_andn2_saveexec_b64 s[24:25], s[24:25]
	s_cbranch_execz .LBB7_21
; %bb.20:
	v_div_scale_f32 v33, s[2:3], v34, v34, v35
	s_mov_b32 s2, 0xf800000
	v_rcp_f32_e32 v36, v33
	v_fma_f32 v37, -v33, v36, 1.0
	v_fmac_f32_e32 v36, v37, v36
	v_div_scale_f32 v37, vcc, v35, v34, v35
	v_mul_f32_e32 v38, v37, v36
	v_fma_f32 v39, -v33, v38, v37
	v_fmac_f32_e32 v38, v39, v36
	v_fma_f32 v33, -v33, v38, v37
	v_div_fmas_f32 v33, v33, v36, v38
	v_div_fixup_f32 v33, v33, v34, v35
	v_fma_f32 v33, v33, v33, 1.0
	v_cmp_gt_f32_e32 vcc, s2, v33
	v_mul_f32_e32 v35, 0x4f800000, v33
	v_cndmask_b32_e32 v33, v33, v35, vcc
	v_sqrt_f32_e32 v35, v33
	v_add_u32_e32 v36, -1, v35
	v_fma_f32 v37, -v36, v35, v33
	v_cmp_ge_f32_e64 s[2:3], 0, v37
	v_add_u32_e32 v37, 1, v35
	v_cndmask_b32_e64 v36, v35, v36, s[2:3]
	v_fma_f32 v35, -v37, v35, v33
	v_cmp_lt_f32_e64 s[2:3], 0, v35
	v_cndmask_b32_e64 v35, v36, v37, s[2:3]
	v_mul_f32_e32 v36, 0x37800000, v35
	v_cndmask_b32_e32 v35, v35, v36, vcc
	v_mov_b32_e32 v36, 0x260
	v_cmp_class_f32_e32 vcc, v33, v36
	v_cndmask_b32_e32 v33, v35, v33, vcc
	v_mul_f32_e32 v33, v34, v33
.LBB7_21:
	s_or_b64 exec, exec, s[24:25]
	v_add_f32_e32 v34, v32, v33
	v_mul_f32_e32 v34, 0.5, v34
	s_mov_b32 s24, 0xf800000
	v_mul_f32_e32 v35, 0x4f800000, v34
	v_cmp_gt_f32_e32 vcc, s24, v34
	v_cndmask_b32_e32 v34, v34, v35, vcc
	v_sqrt_f32_e32 v35, v34
	v_sub_f32_e32 v32, v33, v32
	v_mul_f32_e32 v32, 0.5, v32
	v_mul_f32_e32 v33, 0x4f800000, v32
	v_add_u32_e32 v37, -1, v35
	v_fma_f32 v38, -v37, v35, v34
	v_cmp_ge_f32_e64 s[2:3], 0, v38
	v_add_u32_e32 v38, 1, v35
	v_cndmask_b32_e64 v37, v35, v37, s[2:3]
	v_fma_f32 v35, -v38, v35, v34
	v_cmp_lt_f32_e64 s[2:3], 0, v35
	v_cndmask_b32_e64 v35, v37, v38, s[2:3]
	v_mul_f32_e32 v37, 0x37800000, v35
	v_cndmask_b32_e32 v35, v35, v37, vcc
	v_cmp_gt_f32_e32 vcc, s24, v32
	v_cndmask_b32_e32 v32, v32, v33, vcc
	v_sqrt_f32_e32 v33, v32
	v_mov_b32_e32 v37, 0x260
	v_cmp_class_f32_e64 s[2:3], v34, v37
	v_cndmask_b32_e64 v34, v35, v34, s[2:3]
	v_add_u32_e32 v35, -1, v33
	v_fma_f32 v38, -v35, v33, v32
	v_cmp_ge_f32_e64 s[2:3], 0, v38
	v_add_u32_e32 v38, 1, v33
	v_cndmask_b32_e64 v35, v33, v35, s[2:3]
	v_fma_f32 v33, -v38, v33, v32
	v_cmp_lt_f32_e64 s[2:3], 0, v33
	v_cndmask_b32_e64 v33, v35, v38, s[2:3]
	v_mul_f32_e32 v35, 0x37800000, v33
	v_cndmask_b32_e32 v33, v33, v35, vcc
	v_cmp_class_f32_e32 vcc, v32, v37
	v_cndmask_b32_e32 v32, v33, v32, vcc
	v_cndmask_b32_e64 v32, v32, -v32, s[0:1]
	v_cmp_lt_f32_e32 vcc, 0, v25
	v_cndmask_b32_e64 v32, -v32, v32, vcc
	v_cndmask_b32_e64 v33, -v34, v34, vcc
	v_add_f32_e32 v45, v26, v32
	v_add_f32_e32 v44, v25, v33
	v_mul_f32_e32 v42, v45, v45
	v_fmac_f32_e32 v42, v44, v44
	v_div_scale_f32 v38, s[0:1], v42, v42, 1.0
	v_mul_f32_e32 v46, v44, v45
	v_mov_b32_e32 v36, s19
	v_add_co_u32_e32 v32, vcc, s18, v28
	v_mul_f32_e64 v43, v45, -v45
	v_fmac_f32_e32 v46, v45, v44
	v_addc_co_u32_e32 v33, vcc, v36, v29, vcc
	v_fmac_f32_e32 v43, v44, v44
	v_add_f32_e32 v48, v30, v46
	v_div_scale_f32 v39, vcc, 1.0, v42, 1.0
	v_add_f32_e32 v47, v31, v43
	v_mul_f32_e32 v49, v48, v48
	v_fmac_f32_e32 v49, v47, v47
	v_div_scale_f32 v50, s[0:1], v49, v49, 1.0
	v_rcp_f32_e32 v40, v38
	v_add_co_u32_e64 v34, s[0:1], s20, v28
	v_mov_b32_e32 v35, s21
	v_fma_f32 v28, -v38, v40, 1.0
	v_fmac_f32_e32 v40, v28, v40
	global_load_dwordx2 v[30:31], v[21:22], off
	v_addc_co_u32_e64 v35, s[0:1], v35, v29, s[0:1]
	v_mul_f32_e32 v28, v39, v40
	global_load_dwordx2 v[36:37], v[32:33], off
	v_fma_f32 v29, -v38, v28, v39
	v_fmac_f32_e32 v28, v29, v40
	v_fma_f32 v38, -v38, v28, v39
	v_rcp_f32_e32 v29, v50
	v_div_fmas_f32 v52, v38, v40, v28
	v_mov_b32_e32 v39, s13
	v_div_scale_f32 v51, s[0:1], 1.0, v49, 1.0
	v_fma_f32 v28, -v50, v29, 1.0
	v_fmac_f32_e32 v29, v28, v29
	v_ashrrev_i32_e32 v28, 31, v27
	v_lshlrev_b64 v[27:28], 3, v[27:28]
	v_add_co_u32_e32 v38, vcc, s12, v27
	v_addc_co_u32_e32 v39, vcc, v39, v28, vcc
	global_load_dwordx2 v[40:41], v[38:39], off
	s_mov_b64 vcc, s[0:1]
	v_mul_f32_e32 v53, v51, v29
	v_fma_f32 v54, -v50, v53, v51
	v_fmac_f32_e32 v53, v54, v29
	v_fma_f32 v50, -v50, v53, v51
	v_div_fmas_f32 v29, v50, v29, v53
	v_mul_f32_e32 v50, 0x80000000, v46
	v_add_f32_e32 v46, v46, v46
	v_fmac_f32_e32 v50, 2.0, v43
	v_fmac_f32_e32 v46, 0, v43
	v_mul_f32_e32 v51, v48, v46
	v_mul_f32_e64 v48, v48, -v50
	v_fmac_f32_e32 v48, v46, v47
	v_div_fixup_f32 v46, v52, v42, 1.0
	v_mul_f32_e32 v42, v45, v20
	v_mul_f32_e64 v43, v45, -v19
	v_fmac_f32_e32 v42, v19, v44
	v_fmac_f32_e32 v43, v20, v44
	v_mul_f32_e32 v42, v42, v46
	v_mul_f32_e32 v43, v43, v46
	v_fma_f32 v25, v42, v19, v25
	v_fmac_f32_e32 v26, v43, v19
	v_fmac_f32_e32 v51, v50, v47
	v_fma_f32 v50, -v43, v20, v25
	v_fmac_f32_e32 v26, v42, v20
	global_load_dwordx2 v[19:20], v[34:35], off
	v_mul_f32_e32 v25, 0, v45
	v_mul_f32_e32 v45, 0x80000000, v45
	v_fmac_f32_e32 v25, 0, v44
	v_fmac_f32_e32 v45, 0, v44
	v_mul_f32_e32 v52, v25, v46
	v_mul_f32_e32 v53, v45, v46
	v_div_fixup_f32 v25, v29, v49, 1.0
	v_mul_f32_e32 v49, v25, v51
	v_mul_f32_e32 v48, v48, v25
	v_fmac_f32_e32 v50, 0, v52
	v_fmac_f32_e32 v26, 0, v53
	v_mov_b32_e32 v25, s13
	v_add_co_u32_e32 v23, vcc, s12, v23
	v_fmac_f32_e32 v50, 0x80000000, v53
	v_fmac_f32_e32 v26, 0, v52
	v_addc_co_u32_e32 v24, vcc, v25, v24, vcc
	v_mul_f32_e32 v51, v48, v50
	v_mul_f32_e64 v29, v48, -v26
	v_mov_b32_e32 v45, s15
	v_add_co_u32_e32 v44, vcc, s14, v27
	v_fmac_f32_e32 v51, v26, v49
	v_addc_co_u32_e32 v45, vcc, v45, v28, vcc
	v_fmac_f32_e32 v29, v50, v49
	global_load_dwordx2 v[25:26], v[23:24], off
	global_load_dwordx2 v[46:47], v[44:45], off
	s_waitcnt vmcnt(5)
	v_sub_f32_e32 v29, v30, v29
	v_sub_f32_e32 v30, v31, v51
	global_store_dwordx2 v[21:22], v[29:30], off
	s_waitcnt vmcnt(5)
	v_fma_f32 v21, v42, v9, v36
	v_fma_f32 v22, v43, v9, v37
	v_fma_f32 v21, -v43, v10, v21
	v_fmac_f32_e32 v22, v42, v10
	v_fmac_f32_e32 v21, 0, v52
	;; [unrolled: 1-line block ×5, first 2 shown]
	v_mul_f32_e64 v31, v48, -v22
	v_mul_f32_e32 v50, v48, v21
	v_fmac_f32_e32 v31, v21, v49
	v_fmac_f32_e32 v50, v22, v49
	v_mov_b32_e32 v22, s7
	v_add_co_u32_e32 v21, vcc, s6, v27
	v_addc_co_u32_e32 v22, vcc, v22, v28, vcc
	global_load_dwordx2 v[27:28], v[21:22], off
	v_sub_f32_e32 v29, v36, v31
	v_sub_f32_e32 v30, v37, v50
	global_store_dwordx2 v[32:33], v[29:30], off
	s_waitcnt vmcnt(6)
	v_fma_f32 v29, v42, v17, v40
	v_fma_f32 v30, v43, v17, v41
	v_fma_f32 v29, -v43, v18, v29
	v_fmac_f32_e32 v30, v42, v18
	v_fmac_f32_e32 v29, 0, v52
	;; [unrolled: 1-line block ×5, first 2 shown]
	v_mul_f32_e64 v32, v48, -v30
	v_mul_f32_e32 v33, v48, v29
	v_fmac_f32_e32 v32, v29, v49
	v_fmac_f32_e32 v33, v30, v49
	v_sub_f32_e32 v29, v40, v32
	v_sub_f32_e32 v30, v41, v33
	global_store_dwordx2 v[38:39], v[29:30], off
	v_fma_f32 v29, v42, v42, 1.0
	v_fma_f32 v29, -v43, v43, v29
	v_fmac_f32_e32 v29, v52, v52
	v_fma_f32 v37, -v53, v53, v29
	global_load_dwordx2 v[29:30], v[23:24], off
	v_fma_f32 v36, v43, v42, 0
	v_fmac_f32_e32 v36, v42, v43
	v_fmac_f32_e32 v36, v53, v52
	;; [unrolled: 1-line block ×3, first 2 shown]
	v_mul_f32_e32 v38, v36, v36
	v_fmac_f32_e32 v38, v37, v37
	v_div_scale_f32 v39, s[0:1], v38, v38, 1.0
	v_div_scale_f32 v51, vcc, 1.0, v38, 1.0
	s_waitcnt vmcnt(7)
	v_fma_f32 v41, v43, v11, v20
	v_fma_f32 v40, v42, v11, v19
	v_fmac_f32_e32 v41, v42, v12
	v_fma_f32 v40, -v43, v12, v40
	v_fmac_f32_e32 v41, 0, v53
	v_fmac_f32_e32 v40, 0, v52
	;; [unrolled: 1-line block ×4, first 2 shown]
	v_mul_f32_e64 v54, v48, -v41
	v_fmac_f32_e32 v54, v40, v49
	v_mul_f32_e32 v40, v48, v40
	v_fmac_f32_e32 v40, v41, v49
	v_rcp_f32_e32 v41, v39
	v_sub_f32_e32 v19, v19, v54
	v_sub_f32_e32 v20, v20, v40
	global_store_dwordx2 v[34:35], v[19:20], off
	v_fma_f32 v19, -v39, v41, 1.0
	v_fmac_f32_e32 v41, v19, v41
	v_mul_f32_e32 v19, v51, v41
	v_fma_f32 v20, -v39, v19, v51
	v_fmac_f32_e32 v19, v20, v41
	v_fma_f32 v20, -v39, v19, v51
	v_div_fmas_f32 v34, v20, v41, v19
	s_waitcnt vmcnt(6)
	v_fma_f32 v19, v42, v25, v46
	v_fma_f32 v20, v43, v25, v47
	v_fma_f32 v19, -v43, v26, v19
	v_fmac_f32_e32 v20, v42, v26
	v_fmac_f32_e32 v19, 0, v52
	;; [unrolled: 1-line block ×5, first 2 shown]
	v_mul_f32_e64 v25, v48, -v20
	v_mul_f32_e32 v26, v48, v19
	v_fmac_f32_e32 v25, v19, v49
	v_fmac_f32_e32 v26, v20, v49
	v_sub_f32_e32 v19, v46, v25
	v_sub_f32_e32 v20, v47, v26
	global_store_dwordx2 v[44:45], v[19:20], off
	v_div_fixup_f32 v19, v34, v38, 1.0
	v_mul_f32_e32 v20, 0, v36
	v_mul_f32_e32 v34, -2.0, v36
	v_fmac_f32_e32 v20, 2.0, v37
	v_fmac_f32_e32 v34, 0, v37
	v_mul_f32_e32 v20, v20, v19
	s_waitcnt vmcnt(5)
	v_fma_f32 v35, v43, v15, v28
	v_mul_f32_e32 v19, v34, v19
	v_fma_f32 v34, v42, v15, v27
	v_fmac_f32_e32 v35, v42, v16
	v_fma_f32 v34, -v43, v16, v34
	v_fmac_f32_e32 v35, 0, v53
	v_fmac_f32_e32 v34, 0, v52
	;; [unrolled: 1-line block ×4, first 2 shown]
	v_mul_f32_e64 v36, v19, -v35
	v_fmac_f32_e32 v36, v34, v20
	v_mul_f32_e32 v34, v19, v34
	v_fmac_f32_e32 v34, v35, v20
	v_sub_f32_e32 v19, v27, v36
	v_sub_f32_e32 v20, v28, v34
	global_store_dwordx2 v[21:22], v[19:20], off
	global_store_dwordx2 v[1:2], v[42:43], off
	v_fma_f32 v1, -v31, v42, v9
	v_fma_f32 v2, -v50, v42, v10
	v_fmac_f32_e32 v1, v50, v43
	v_fma_f32 v2, -v31, v43, v2
	global_store_dwordx2 v[3:4], v[1:2], off
	v_fma_f32 v1, -v54, v42, v11
	v_fma_f32 v2, -v40, v42, v12
	v_fmac_f32_e32 v1, v40, v43
	v_fma_f32 v2, -v54, v43, v2
	;; [unrolled: 5-line block ×3, first 2 shown]
	global_store_dwordx2 v[7:8], v[1:2], off
	s_waitcnt vmcnt(7)
	v_fma_f32 v1, -v25, v42, v29
	v_fma_f32 v2, -v26, v42, v30
	v_fmac_f32_e32 v1, v26, v43
	v_fma_f32 v2, -v25, v43, v2
	global_store_dwordx2 v[23:24], v[1:2], off
	v_fma_f32 v1, -v42, v36, v15
	v_fma_f32 v2, -v43, v36, v16
	v_fmac_f32_e32 v1, v43, v34
	v_fma_f32 v2, -v42, v34, v2
	global_store_dwordx2 v[13:14], v[1:2], off
.LBB7_22:
	s_or_b64 exec, exec, s[22:23]
.LBB7_23:
	s_cmp_lt_i32 s8, 1
	s_cbranch_scc1 .LBB7_36
; %bb.24:
	s_mul_i32 s2, s10, s8
	v_add_u32_e32 v4, s2, v0
	s_add_i32 s2, s8, 3
	s_mul_i32 s2, s10, s2
	v_add_u32_e32 v5, s2, v0
	s_add_i32 s2, s8, 2
	s_mul_i32 s2, s10, s2
	s_load_dwordx2 s[0:1], s[4:5], 0x38
	v_add_u32_e32 v6, s2, v0
	s_add_i32 s2, s8, 1
	s_mul_i32 s2, s10, s2
	v_add_u32_e32 v7, s2, v0
	s_add_i32 s2, s8, -1
	s_mul_i32 s3, s10, s2
	s_mul_i32 s2, s9, s2
	v_add_u32_e32 v8, s3, v0
	v_add_u32_e32 v9, s2, v0
	s_mov_b32 s4, s8
	s_branch .LBB7_26
.LBB7_25:                               ;   in Loop: Header=BB7_26 Depth=1
	v_lshlrev_b64 v[0:1], 3, v[0:1]
	s_waitcnt lgkmcnt(0)
	v_mov_b32_e32 v13, s17
	v_add_co_u32_e32 v12, vcc, s16, v0
	v_addc_co_u32_e32 v13, vcc, v13, v1, vcc
	global_load_dwordx2 v[12:13], v[12:13], off
	v_mov_b32_e32 v14, s7
	v_add_co_u32_e32 v2, vcc, s6, v2
	v_addc_co_u32_e32 v3, vcc, v14, v3, vcc
	global_load_dwordx2 v[2:3], v[2:3], off
	v_mov_b32_e32 v17, s1
	v_subrev_u32_e32 v4, s10, v4
	v_subrev_u32_e32 v5, s10, v5
	;; [unrolled: 1-line block ×6, first 2 shown]
	s_waitcnt vmcnt(1)
	v_mul_f32_e32 v14, v13, v13
	v_fmac_f32_e32 v14, v12, v12
	v_div_scale_f32 v15, s[2:3], v14, v14, 1.0
	v_div_scale_f32 v16, vcc, 1.0, v14, 1.0
	s_waitcnt vmcnt(0)
	v_sub_f32_e32 v2, v2, v11
	v_sub_f32_e32 v3, v3, v10
	v_mul_f32_e32 v10, v13, v3
	v_mul_f32_e64 v11, v13, -v2
	s_add_i32 s2, s4, -1
	v_fmac_f32_e32 v10, v2, v12
	v_fmac_f32_e32 v11, v3, v12
	s_cmp_gt_u32 s4, 1
	s_mov_b32 s4, s2
	v_rcp_f32_e32 v18, v15
	v_fma_f32 v19, -v15, v18, 1.0
	v_fmac_f32_e32 v18, v19, v18
	v_mul_f32_e32 v19, v16, v18
	v_fma_f32 v20, -v15, v19, v16
	v_fmac_f32_e32 v19, v20, v18
	v_fma_f32 v15, -v15, v19, v16
	v_div_fmas_f32 v15, v15, v18, v19
	v_add_co_u32_e32 v0, vcc, s0, v0
	v_addc_co_u32_e32 v1, vcc, v17, v1, vcc
	v_div_fixup_f32 v3, v15, v14, 1.0
	v_mul_f32_e32 v2, v3, v10
	v_mul_f32_e32 v3, v11, v3
	global_store_dwordx2 v[0:1], v[2:3], off
	s_cbranch_scc0 .LBB7_36
.LBB7_26:                               ; =>This Inner Loop Header: Depth=1
	v_add_u32_e32 v0, s11, v8
	v_mov_b32_e32 v10, 0
	s_cmp_ge_i32 s4, s8
	v_ashrrev_i32_e32 v1, 31, v0
	v_mov_b32_e32 v11, 0
	s_cbranch_scc1 .LBB7_28
; %bb.27:                               ;   in Loop: Header=BB7_26 Depth=1
	v_lshlrev_b64 v[2:3], 3, v[0:1]
	s_waitcnt lgkmcnt(0)
	v_mov_b32_e32 v10, s19
	v_add_co_u32_e32 v2, vcc, s18, v2
	v_addc_co_u32_e32 v3, vcc, v10, v3, vcc
	v_add_u32_e32 v10, s11, v4
	v_ashrrev_i32_e32 v11, 31, v10
	v_lshlrev_b64 v[10:11], 3, v[10:11]
	v_mov_b32_e32 v12, s1
	v_add_co_u32_e32 v10, vcc, s0, v10
	v_addc_co_u32_e32 v11, vcc, v12, v11, vcc
	global_load_dwordx2 v[12:13], v[2:3], off
	global_load_dwordx2 v[14:15], v[10:11], off
	s_waitcnt vmcnt(0)
	v_mul_f32_e64 v2, v15, -v13
	v_mul_f32_e32 v3, v15, v12
	v_fmac_f32_e32 v2, v12, v14
	v_fmac_f32_e32 v3, v13, v14
	v_add_f32_e32 v11, 0, v2
	v_add_f32_e32 v10, 0, v3
.LBB7_28:                               ;   in Loop: Header=BB7_26 Depth=1
	s_add_i32 s5, s4, 1
	s_cmp_ge_i32 s5, s8
	s_cbranch_scc1 .LBB7_30
; %bb.29:                               ;   in Loop: Header=BB7_26 Depth=1
	v_lshlrev_b64 v[2:3], 3, v[0:1]
	s_waitcnt lgkmcnt(0)
	v_mov_b32_e32 v12, s21
	v_add_co_u32_e32 v2, vcc, s20, v2
	v_addc_co_u32_e32 v3, vcc, v12, v3, vcc
	v_add_u32_e32 v12, s11, v7
	v_ashrrev_i32_e32 v13, 31, v12
	v_lshlrev_b64 v[12:13], 3, v[12:13]
	v_mov_b32_e32 v14, s1
	v_add_co_u32_e32 v12, vcc, s0, v12
	v_addc_co_u32_e32 v13, vcc, v14, v13, vcc
	global_load_dwordx2 v[14:15], v[2:3], off
	global_load_dwordx2 v[16:17], v[12:13], off
	s_waitcnt vmcnt(0)
	v_mul_f32_e64 v2, v17, -v15
	v_mul_f32_e32 v3, v17, v14
	v_fmac_f32_e32 v2, v14, v16
	v_fmac_f32_e32 v3, v15, v16
	v_add_f32_e32 v11, v11, v2
	v_add_f32_e32 v10, v10, v3
.LBB7_30:                               ;   in Loop: Header=BB7_26 Depth=1
	s_add_i32 s5, s5, 1
	v_add_u32_e32 v2, s11, v9
	s_cmp_lt_i32 s5, s8
	s_mov_b64 s[2:3], -1
	s_cbranch_scc0 .LBB7_33
; %bb.31:                               ;   in Loop: Header=BB7_26 Depth=1
	s_andn2_b64 vcc, exec, s[2:3]
	s_cbranch_vccz .LBB7_34
.LBB7_32:                               ;   in Loop: Header=BB7_26 Depth=1
	s_add_i32 s5, s5, 1
	v_lshlrev_b64 v[2:3], 3, v[2:3]
	s_cmp_ge_i32 s5, s8
	s_cbranch_scc1 .LBB7_25
	s_branch .LBB7_35
.LBB7_33:                               ;   in Loop: Header=BB7_26 Depth=1
	v_ashrrev_i32_e32 v3, 31, v2
	s_cbranch_execnz .LBB7_32
.LBB7_34:                               ;   in Loop: Header=BB7_26 Depth=1
	v_ashrrev_i32_e32 v3, 31, v2
	v_lshlrev_b64 v[12:13], 3, v[2:3]
	s_waitcnt lgkmcnt(0)
	v_mov_b32_e32 v14, s13
	v_add_co_u32_e32 v12, vcc, s12, v12
	v_addc_co_u32_e32 v13, vcc, v14, v13, vcc
	v_add_u32_e32 v14, s11, v6
	v_ashrrev_i32_e32 v15, 31, v14
	v_lshlrev_b64 v[14:15], 3, v[14:15]
	v_mov_b32_e32 v16, s1
	v_add_co_u32_e32 v14, vcc, s0, v14
	v_addc_co_u32_e32 v15, vcc, v16, v15, vcc
	global_load_dwordx2 v[16:17], v[12:13], off
	global_load_dwordx2 v[18:19], v[14:15], off
	s_waitcnt vmcnt(0)
	v_mul_f32_e64 v12, v19, -v17
	v_mul_f32_e32 v13, v19, v16
	v_fmac_f32_e32 v12, v16, v18
	v_fmac_f32_e32 v13, v17, v18
	v_add_f32_e32 v11, v11, v12
	v_add_f32_e32 v10, v10, v13
	s_add_i32 s5, s5, 1
	v_lshlrev_b64 v[2:3], 3, v[2:3]
	s_cmp_ge_i32 s5, s8
	s_cbranch_scc1 .LBB7_25
.LBB7_35:                               ;   in Loop: Header=BB7_26 Depth=1
	v_add_u32_e32 v14, s11, v5
	v_ashrrev_i32_e32 v15, 31, v14
	s_waitcnt lgkmcnt(0)
	v_mov_b32_e32 v13, s15
	v_add_co_u32_e32 v12, vcc, s14, v2
	v_lshlrev_b64 v[14:15], 3, v[14:15]
	v_addc_co_u32_e32 v13, vcc, v13, v3, vcc
	v_mov_b32_e32 v16, s1
	v_add_co_u32_e32 v14, vcc, s0, v14
	v_addc_co_u32_e32 v15, vcc, v16, v15, vcc
	global_load_dwordx2 v[16:17], v[12:13], off
	global_load_dwordx2 v[18:19], v[14:15], off
	s_waitcnt vmcnt(0)
	v_mul_f32_e64 v12, v19, -v17
	v_mul_f32_e32 v13, v19, v16
	v_fmac_f32_e32 v12, v16, v18
	v_fmac_f32_e32 v13, v17, v18
	v_add_f32_e32 v11, v11, v12
	v_add_f32_e32 v10, v10, v13
	s_branch .LBB7_25
.LBB7_36:
	s_endpgm
	.section	.rodata,"a",@progbits
	.p2align	6, 0x0
	.amdhsa_kernel _ZN9rocsparseL44gpsv_interleaved_batch_householder_qr_kernelILj256E21rocsparse_complex_numIfEEEviiiPT0_S4_S4_S4_S4_S4_S4_S4_S4_
		.amdhsa_group_segment_fixed_size 0
		.amdhsa_private_segment_fixed_size 0
		.amdhsa_kernarg_size 344
		.amdhsa_user_sgpr_count 6
		.amdhsa_user_sgpr_private_segment_buffer 1
		.amdhsa_user_sgpr_dispatch_ptr 0
		.amdhsa_user_sgpr_queue_ptr 0
		.amdhsa_user_sgpr_kernarg_segment_ptr 1
		.amdhsa_user_sgpr_dispatch_id 0
		.amdhsa_user_sgpr_flat_scratch_init 0
		.amdhsa_user_sgpr_private_segment_size 0
		.amdhsa_uses_dynamic_stack 0
		.amdhsa_system_sgpr_private_segment_wavefront_offset 0
		.amdhsa_system_sgpr_workgroup_id_x 1
		.amdhsa_system_sgpr_workgroup_id_y 0
		.amdhsa_system_sgpr_workgroup_id_z 0
		.amdhsa_system_sgpr_workgroup_info 0
		.amdhsa_system_vgpr_workitem_id 0
		.amdhsa_next_free_vgpr 84
		.amdhsa_next_free_sgpr 35
		.amdhsa_reserve_vcc 1
		.amdhsa_reserve_flat_scratch 0
		.amdhsa_float_round_mode_32 0
		.amdhsa_float_round_mode_16_64 0
		.amdhsa_float_denorm_mode_32 3
		.amdhsa_float_denorm_mode_16_64 3
		.amdhsa_dx10_clamp 1
		.amdhsa_ieee_mode 1
		.amdhsa_fp16_overflow 0
		.amdhsa_exception_fp_ieee_invalid_op 0
		.amdhsa_exception_fp_denorm_src 0
		.amdhsa_exception_fp_ieee_div_zero 0
		.amdhsa_exception_fp_ieee_overflow 0
		.amdhsa_exception_fp_ieee_underflow 0
		.amdhsa_exception_fp_ieee_inexact 0
		.amdhsa_exception_int_div_zero 0
	.end_amdhsa_kernel
	.section	.text._ZN9rocsparseL44gpsv_interleaved_batch_householder_qr_kernelILj256E21rocsparse_complex_numIfEEEviiiPT0_S4_S4_S4_S4_S4_S4_S4_S4_,"axG",@progbits,_ZN9rocsparseL44gpsv_interleaved_batch_householder_qr_kernelILj256E21rocsparse_complex_numIfEEEviiiPT0_S4_S4_S4_S4_S4_S4_S4_S4_,comdat
.Lfunc_end7:
	.size	_ZN9rocsparseL44gpsv_interleaved_batch_householder_qr_kernelILj256E21rocsparse_complex_numIfEEEviiiPT0_S4_S4_S4_S4_S4_S4_S4_S4_, .Lfunc_end7-_ZN9rocsparseL44gpsv_interleaved_batch_householder_qr_kernelILj256E21rocsparse_complex_numIfEEEviiiPT0_S4_S4_S4_S4_S4_S4_S4_S4_
                                        ; -- End function
	.set _ZN9rocsparseL44gpsv_interleaved_batch_householder_qr_kernelILj256E21rocsparse_complex_numIfEEEviiiPT0_S4_S4_S4_S4_S4_S4_S4_S4_.num_vgpr, 84
	.set _ZN9rocsparseL44gpsv_interleaved_batch_householder_qr_kernelILj256E21rocsparse_complex_numIfEEEviiiPT0_S4_S4_S4_S4_S4_S4_S4_S4_.num_agpr, 0
	.set _ZN9rocsparseL44gpsv_interleaved_batch_householder_qr_kernelILj256E21rocsparse_complex_numIfEEEviiiPT0_S4_S4_S4_S4_S4_S4_S4_S4_.numbered_sgpr, 35
	.set _ZN9rocsparseL44gpsv_interleaved_batch_householder_qr_kernelILj256E21rocsparse_complex_numIfEEEviiiPT0_S4_S4_S4_S4_S4_S4_S4_S4_.num_named_barrier, 0
	.set _ZN9rocsparseL44gpsv_interleaved_batch_householder_qr_kernelILj256E21rocsparse_complex_numIfEEEviiiPT0_S4_S4_S4_S4_S4_S4_S4_S4_.private_seg_size, 0
	.set _ZN9rocsparseL44gpsv_interleaved_batch_householder_qr_kernelILj256E21rocsparse_complex_numIfEEEviiiPT0_S4_S4_S4_S4_S4_S4_S4_S4_.uses_vcc, 1
	.set _ZN9rocsparseL44gpsv_interleaved_batch_householder_qr_kernelILj256E21rocsparse_complex_numIfEEEviiiPT0_S4_S4_S4_S4_S4_S4_S4_S4_.uses_flat_scratch, 0
	.set _ZN9rocsparseL44gpsv_interleaved_batch_householder_qr_kernelILj256E21rocsparse_complex_numIfEEEviiiPT0_S4_S4_S4_S4_S4_S4_S4_S4_.has_dyn_sized_stack, 0
	.set _ZN9rocsparseL44gpsv_interleaved_batch_householder_qr_kernelILj256E21rocsparse_complex_numIfEEEviiiPT0_S4_S4_S4_S4_S4_S4_S4_S4_.has_recursion, 0
	.set _ZN9rocsparseL44gpsv_interleaved_batch_householder_qr_kernelILj256E21rocsparse_complex_numIfEEEviiiPT0_S4_S4_S4_S4_S4_S4_S4_S4_.has_indirect_call, 0
	.section	.AMDGPU.csdata,"",@progbits
; Kernel info:
; codeLenInByte = 6016
; TotalNumSgprs: 39
; NumVgprs: 84
; ScratchSize: 0
; MemoryBound: 0
; FloatMode: 240
; IeeeMode: 1
; LDSByteSize: 0 bytes/workgroup (compile time only)
; SGPRBlocks: 4
; VGPRBlocks: 20
; NumSGPRsForWavesPerEU: 39
; NumVGPRsForWavesPerEU: 84
; Occupancy: 3
; WaveLimiterHint : 0
; COMPUTE_PGM_RSRC2:SCRATCH_EN: 0
; COMPUTE_PGM_RSRC2:USER_SGPR: 6
; COMPUTE_PGM_RSRC2:TRAP_HANDLER: 0
; COMPUTE_PGM_RSRC2:TGID_X_EN: 1
; COMPUTE_PGM_RSRC2:TGID_Y_EN: 0
; COMPUTE_PGM_RSRC2:TGID_Z_EN: 0
; COMPUTE_PGM_RSRC2:TIDIG_COMP_CNT: 0
	.section	.text._ZN9rocsparseL39gpsv_interleaved_batch_givens_qr_kernelILj128E21rocsparse_complex_numIfEEEviiiPT0_S4_S4_S4_S4_S4_S4_S4_,"axG",@progbits,_ZN9rocsparseL39gpsv_interleaved_batch_givens_qr_kernelILj128E21rocsparse_complex_numIfEEEviiiPT0_S4_S4_S4_S4_S4_S4_S4_,comdat
	.globl	_ZN9rocsparseL39gpsv_interleaved_batch_givens_qr_kernelILj128E21rocsparse_complex_numIfEEEviiiPT0_S4_S4_S4_S4_S4_S4_S4_ ; -- Begin function _ZN9rocsparseL39gpsv_interleaved_batch_givens_qr_kernelILj128E21rocsparse_complex_numIfEEEviiiPT0_S4_S4_S4_S4_S4_S4_S4_
	.p2align	8
	.type	_ZN9rocsparseL39gpsv_interleaved_batch_givens_qr_kernelILj128E21rocsparse_complex_numIfEEEviiiPT0_S4_S4_S4_S4_S4_S4_S4_,@function
_ZN9rocsparseL39gpsv_interleaved_batch_givens_qr_kernelILj128E21rocsparse_complex_numIfEEEviiiPT0_S4_S4_S4_S4_S4_S4_S4_: ; @_ZN9rocsparseL39gpsv_interleaved_batch_givens_qr_kernelILj128E21rocsparse_complex_numIfEEEviiiPT0_S4_S4_S4_S4_S4_S4_S4_
; %bb.0:
	s_load_dwordx4 s[16:19], s[4:5], 0x0
	s_waitcnt lgkmcnt(0)
	s_lshl_b32 s19, s6, 7
	v_or_b32_e32 v48, s19, v0
	v_cmp_gt_i32_e32 vcc, s17, v48
	s_and_saveexec_b64 s[0:1], vcc
	s_cbranch_execz .LBB8_25
; %bb.1:
	s_load_dwordx2 s[6:7], s[4:5], 0x48
	s_load_dwordx4 s[20:23], s[4:5], 0x38
	s_load_dwordx8 s[8:15], s[4:5], 0x18
	s_add_i32 s26, s16, -2
	s_cmp_lt_i32 s16, 3
	s_cbranch_scc1 .LBB8_16
; %bb.2:
	s_load_dwordx2 s[2:3], s[4:5], 0x10
	s_lshl_b32 s27, s18, 1
	s_waitcnt lgkmcnt(0)
	v_mov_b32_e32 v49, s9
	v_mov_b32_e32 v50, s11
	v_mov_b32_e32 v51, s13
	v_mov_b32_e32 v52, s3
	v_mov_b32_e32 v53, s15
	s_mov_b32 s3, 0xf800000
	v_mov_b32_e32 v54, 0x260
	v_mov_b32_e32 v24, v48
	s_mov_b32 s28, s26
	v_mov_b32_e32 v18, v48
	s_branch .LBB8_4
.LBB8_3:                                ;   in Loop: Header=BB8_4 Depth=1
	s_or_b64 exec, exec, s[4:5]
	v_mul_f32_e32 v19, 0x4f800000, v45
	v_cmp_gt_f32_e32 vcc, s3, v45
	v_cndmask_b32_e32 v19, v45, v19, vcc
	v_sqrt_f32_e32 v44, v19
	v_mul_f32_e32 v57, 0x80000000, v41
	v_mul_f32_e32 v58, 0x80000000, v40
	;; [unrolled: 1-line block ×3, first 2 shown]
	v_add_u32_e32 v45, -1, v44
	v_fma_f32 v47, -v45, v44, v19
	v_add_u32_e32 v46, 1, v44
	v_cmp_ge_f32_e64 s[0:1], 0, v47
	v_cndmask_b32_e64 v45, v44, v45, s[0:1]
	v_fma_f32 v44, -v46, v44, v19
	v_cmp_lt_f32_e64 s[0:1], 0, v44
	v_cndmask_b32_e64 v44, v45, v46, s[0:1]
	v_mul_f32_e32 v45, 0x37800000, v44
	v_cndmask_b32_e32 v44, v44, v45, vcc
	v_cmp_class_f32_e32 vcc, v19, v54
	v_cndmask_b32_e32 v19, v44, v19, vcc
	v_fma_f32 v55, v19, v19, 0
	v_div_scale_f32 v44, s[0:1], v55, v55, 1.0
	v_div_scale_f32 v45, vcc, 1.0, v55, 1.0
	v_mul_f32_e32 v60, 0x80000000, v8
	v_fmac_f32_e32 v57, v40, v19
	v_fma_f32 v58, -v41, v19, v58
	v_fmac_f32_e32 v59, v8, v19
	v_fma_f32 v19, -v9, v19, v60
	s_add_i32 s28, s28, -1
	s_cmp_eq_u32 s28, 0
	v_rcp_f32_e32 v46, v44
	v_fma_f32 v47, -v44, v46, 1.0
	v_fmac_f32_e32 v46, v47, v46
	v_mul_f32_e32 v47, v45, v46
	v_fma_f32 v56, -v44, v47, v45
	v_fmac_f32_e32 v47, v56, v46
	v_fma_f32 v44, -v44, v47, v45
	v_div_fmas_f32 v56, v44, v46, v47
	v_mov_b32_e32 v44, s7
	v_add_co_u32_e32 v42, vcc, s6, v42
	v_addc_co_u32_e32 v43, vcc, v44, v43, vcc
	global_load_dwordx2 v[44:45], v[42:43], off
	global_load_dwordx2 v[46:47], v[20:21], off
	v_div_fixup_f32 v55, v56, v55, 1.0
	v_mul_f32_e32 v58, v58, v55
	v_mul_f32_e32 v19, v19, v55
	;; [unrolled: 1-line block ×4, first 2 shown]
	v_mul_f32_e64 v55, v19, -v9
	v_mul_f32_e32 v56, v8, v19
	v_mul_f32_e32 v60, v11, v58
	v_mul_f32_e64 v61, v10, -v58
	v_fmac_f32_e32 v55, v8, v59
	v_fmac_f32_e32 v56, v9, v59
	;; [unrolled: 1-line block ×6, first 2 shown]
	s_waitcnt vmcnt(4)
	v_fma_f32 v8, -v38, v59, v60
	v_fma_f32 v9, -v39, v59, v61
	;; [unrolled: 1-line block ×3, first 2 shown]
	v_fmac_f32_e32 v56, v40, v58
	v_fma_f32 v8, v39, -v19, v8
	v_fmac_f32_e32 v9, v38, v19
	global_store_dwordx2 v[36:37], v[55:56], off
	global_store_dwordx2 v[6:7], v[8:9], off
	v_mul_f32_e64 v6, v19, -v11
	v_mul_f32_e32 v7, v10, v19
	v_fmac_f32_e32 v6, v10, v59
	v_fmac_f32_e32 v7, v11, v59
	;; [unrolled: 1-line block ×4, first 2 shown]
	v_fma_f32 v6, -v39, v58, v6
	v_fmac_f32_e32 v7, v38, v58
	global_store_dwordx2 v[32:33], v[6:7], off
	v_mul_f32_e32 v6, v13, v58
	v_mul_f32_e64 v7, v12, -v58
	v_fmac_f32_e32 v6, v12, v57
	v_fmac_f32_e32 v7, v13, v57
	s_waitcnt vmcnt(6)
	v_fma_f32 v6, -v34, v59, v6
	v_fma_f32 v7, -v35, v59, v7
	v_fma_f32 v6, v35, -v19, v6
	v_fmac_f32_e32 v7, v34, v19
	global_store_dwordx2 v[4:5], v[6:7], off
	v_mul_f32_e64 v4, v19, -v13
	v_mul_f32_e32 v5, v12, v19
	v_fmac_f32_e32 v4, v12, v59
	v_fmac_f32_e32 v5, v13, v59
	;; [unrolled: 1-line block ×4, first 2 shown]
	v_fma_f32 v4, -v35, v58, v4
	v_fmac_f32_e32 v5, v34, v58
	global_store_dwordx2 v[28:29], v[4:5], off
	v_mul_f32_e32 v4, v15, v58
	v_mul_f32_e64 v5, v14, -v58
	v_fmac_f32_e32 v4, v14, v57
	v_fmac_f32_e32 v5, v15, v57
	s_waitcnt vmcnt(7)
	v_fma_f32 v4, -v30, v59, v4
	v_fma_f32 v5, -v31, v59, v5
	v_fma_f32 v4, v31, -v19, v4
	v_fmac_f32_e32 v5, v30, v19
	global_store_dwordx2 v[2:3], v[4:5], off
	v_mul_f32_e64 v2, v19, -v15
	v_mul_f32_e32 v3, v14, v19
	v_fmac_f32_e32 v2, v14, v59
	v_fmac_f32_e32 v3, v15, v59
	;; [unrolled: 1-line block ×4, first 2 shown]
	v_fma_f32 v2, -v31, v58, v2
	v_fmac_f32_e32 v3, v30, v58
	global_store_dwordx2 v[24:25], v[2:3], off
	v_mul_f32_e32 v2, v58, v23
	v_mul_f32_e64 v3, v22, -v58
	v_fmac_f32_e32 v2, v22, v57
	v_fmac_f32_e32 v3, v23, v57
	global_store_dwordx2 v[26:27], v[2:3], off
	v_mul_f32_e64 v2, v19, -v23
	v_mul_f32_e32 v3, v19, v22
	v_mov_b32_e32 v5, s23
	v_add_co_u32_e32 v4, vcc, s22, v17
	v_fmac_f32_e32 v2, v22, v59
	v_fmac_f32_e32 v3, v23, v59
	v_addc_co_u32_e32 v5, vcc, v5, v18, vcc
	global_store_dwordx2 v[4:5], v[2:3], off
	s_waitcnt vmcnt(9)
	v_mul_f32_e64 v2, v19, -v47
	v_mul_f32_e32 v3, v19, v46
	v_fmac_f32_e32 v2, v46, v59
	v_fmac_f32_e32 v3, v47, v59
	;; [unrolled: 1-line block ×4, first 2 shown]
	v_fma_f32 v2, -v45, v58, v2
	v_fmac_f32_e32 v3, v44, v58
	global_store_dwordx2 v[42:43], v[2:3], off
	v_mul_f32_e32 v2, v58, v47
	v_mul_f32_e64 v3, v46, -v58
	v_fmac_f32_e32 v2, v46, v57
	v_fmac_f32_e32 v3, v47, v57
	v_fma_f32 v2, -v44, v59, v2
	v_fma_f32 v3, -v45, v59, v3
	v_fma_f32 v2, v45, -v19, v2
	v_fmac_f32_e32 v3, v44, v19
	v_mov_b32_e32 v24, v1
	v_mov_b32_e32 v18, v16
	global_store_dwordx2 v[20:21], v[2:3], off
	s_cbranch_scc1 .LBB8_16
.LBB8_4:                                ; =>This Inner Loop Header: Depth=1
	v_add_u32_e32 v2, s27, v24
	v_ashrrev_i32_e32 v3, 31, v2
	v_lshlrev_b64 v[28:29], 3, v[2:3]
	v_add_u32_e32 v1, s18, v24
	v_add_co_u32_e32 v2, vcc, s2, v28
	v_addc_co_u32_e32 v3, vcc, v52, v29, vcc
	global_load_dwordx2 v[9:10], v[2:3], off
	v_ashrrev_i32_e32 v2, 31, v1
	v_lshlrev_b64 v[20:21], 3, v[1:2]
                                        ; implicit-def: $vgpr14
	v_add_co_u32_e32 v42, vcc, s8, v20
	v_addc_co_u32_e32 v43, vcc, v49, v21, vcc
	v_add_co_u32_e32 v40, vcc, s8, v28
	v_addc_co_u32_e32 v41, vcc, v49, v29, vcc
	;; [unrolled: 2-line block ×5, first 2 shown]
	v_add_co_u32_e32 v25, vcc, s12, v28
	global_load_dwordx2 v[11:12], v[42:43], off
	global_load_dwordx2 v[44:45], v[40:41], off
	v_addc_co_u32_e32 v26, vcc, v51, v29, vcc
	v_add_co_u32_e32 v2, vcc, s14, v20
	v_addc_co_u32_e32 v3, vcc, v53, v21, vcc
	v_add_co_u32_e32 v22, vcc, s14, v28
	global_load_dwordx2 v[46:47], v[6:7], off
	global_load_dwordx2 v[36:37], v[30:31], off
	;; [unrolled: 1-line block ×4, first 2 shown]
	v_addc_co_u32_e32 v23, vcc, v53, v29, vcc
	global_load_dwordx2 v[34:35], v[2:3], off
	global_load_dwordx2 v[16:17], v[22:23], off
	s_waitcnt vmcnt(8)
	v_mul_f32_e64 v13, v9, -v10
	v_fmac_f32_e32 v13, v10, v9
	v_mul_f32_e32 v8, v10, v10
	v_fmac_f32_e32 v8, v9, v9
	s_waitcnt vmcnt(7)
	v_fmac_f32_e32 v13, v12, v11
	v_fma_f32 v15, v11, -v12, v13
	v_fmac_f32_e32 v8, v11, v11
	v_cmp_gt_f32_e32 vcc, 0, v15
	v_fmac_f32_e32 v8, v12, v12
	v_cndmask_b32_e64 v13, v15, -v15, vcc
	v_cmp_ngt_f32_e32 vcc, v8, v13
	s_and_saveexec_b64 s[0:1], vcc
	s_xor_b64 s[4:5], exec, s[0:1]
	s_cbranch_execz .LBB8_8
; %bb.5:                                ;   in Loop: Header=BB8_4 Depth=1
	v_mov_b32_e32 v14, 0
	v_cmp_neq_f32_e32 vcc, 0, v15
	s_and_saveexec_b64 s[24:25], vcc
	s_cbranch_execz .LBB8_7
; %bb.6:                                ;   in Loop: Header=BB8_4 Depth=1
	v_div_scale_f32 v14, s[0:1], v13, v13, v8
	v_div_scale_f32 v15, vcc, v8, v13, v8
	v_rcp_f32_e32 v19, v14
	v_fma_f32 v27, -v14, v19, 1.0
	v_fmac_f32_e32 v19, v27, v19
	v_mul_f32_e32 v27, v15, v19
	v_fma_f32 v55, -v14, v27, v15
	v_fmac_f32_e32 v27, v55, v19
	v_fma_f32 v14, -v14, v27, v15
	v_div_fmas_f32 v14, v14, v19, v27
	v_div_fixup_f32 v8, v14, v13, v8
	v_fma_f32 v8, v8, v8, 1.0
	v_mul_f32_e32 v14, 0x4f800000, v8
	v_cmp_gt_f32_e32 vcc, s3, v8
	v_cndmask_b32_e32 v8, v8, v14, vcc
	v_sqrt_f32_e32 v14, v8
	v_add_u32_e32 v15, -1, v14
	v_add_u32_e32 v19, 1, v14
	v_fma_f32 v27, -v15, v14, v8
	v_fma_f32 v55, -v19, v14, v8
	v_cmp_ge_f32_e64 s[0:1], 0, v27
	v_cndmask_b32_e64 v14, v14, v15, s[0:1]
	v_cmp_lt_f32_e64 s[0:1], 0, v55
	v_cndmask_b32_e64 v14, v14, v19, s[0:1]
	v_mul_f32_e32 v15, 0x37800000, v14
	v_cndmask_b32_e32 v14, v14, v15, vcc
	v_cmp_class_f32_e32 vcc, v8, v54
	v_cndmask_b32_e32 v8, v14, v8, vcc
	v_mul_f32_e32 v14, v13, v8
.LBB8_7:                                ;   in Loop: Header=BB8_4 Depth=1
	s_or_b64 exec, exec, s[24:25]
                                        ; implicit-def: $vgpr8
                                        ; implicit-def: $vgpr13
.LBB8_8:                                ;   in Loop: Header=BB8_4 Depth=1
	s_andn2_saveexec_b64 s[4:5], s[4:5]
	s_cbranch_execz .LBB8_10
; %bb.9:                                ;   in Loop: Header=BB8_4 Depth=1
	v_div_scale_f32 v14, s[0:1], v8, v8, v13
	v_div_scale_f32 v15, vcc, v13, v8, v13
	v_rcp_f32_e32 v19, v14
	v_fma_f32 v27, -v14, v19, 1.0
	v_fmac_f32_e32 v19, v27, v19
	v_mul_f32_e32 v27, v15, v19
	v_fma_f32 v55, -v14, v27, v15
	v_fmac_f32_e32 v27, v55, v19
	v_fma_f32 v14, -v14, v27, v15
	v_div_fmas_f32 v14, v14, v19, v27
	v_div_fixup_f32 v13, v14, v8, v13
	v_fma_f32 v13, v13, v13, 1.0
	v_mul_f32_e32 v14, 0x4f800000, v13
	v_cmp_gt_f32_e32 vcc, s3, v13
	v_cndmask_b32_e32 v13, v13, v14, vcc
	v_sqrt_f32_e32 v14, v13
	v_add_u32_e32 v15, -1, v14
	v_add_u32_e32 v19, 1, v14
	v_fma_f32 v27, -v15, v14, v13
	v_fma_f32 v55, -v19, v14, v13
	v_cmp_ge_f32_e64 s[0:1], 0, v27
	v_cndmask_b32_e64 v14, v14, v15, s[0:1]
	v_cmp_lt_f32_e64 s[0:1], 0, v55
	v_cndmask_b32_e64 v14, v14, v19, s[0:1]
	v_mul_f32_e32 v15, 0x37800000, v14
	v_cndmask_b32_e32 v14, v14, v15, vcc
	v_cmp_class_f32_e32 vcc, v13, v54
	v_cndmask_b32_e32 v13, v14, v13, vcc
	v_mul_f32_e32 v14, v8, v13
.LBB8_10:                               ;   in Loop: Header=BB8_4 Depth=1
	s_or_b64 exec, exec, s[4:5]
	v_cmp_gt_f32_e32 vcc, s3, v14
	v_mul_f32_e32 v8, 0x4f800000, v14
	v_cndmask_b32_e32 v8, v14, v8, vcc
	v_sqrt_f32_e32 v13, v8
	v_add_u32_e32 v14, -1, v13
	v_fma_f32 v15, -v14, v13, v8
	v_cmp_ge_f32_e64 s[0:1], 0, v15
	v_add_u32_e32 v15, 1, v13
	v_cndmask_b32_e64 v14, v13, v14, s[0:1]
	v_fma_f32 v13, -v15, v13, v8
	v_cmp_lt_f32_e64 s[0:1], 0, v13
	v_cndmask_b32_e64 v13, v14, v15, s[0:1]
	v_mul_f32_e32 v14, 0x37800000, v13
	v_cndmask_b32_e32 v13, v13, v14, vcc
	v_cmp_class_f32_e32 vcc, v8, v54
	v_cndmask_b32_e32 v8, v13, v8, vcc
	v_fma_f32 v13, v8, v8, 0
	v_div_scale_f32 v14, s[0:1], v13, v13, 1.0
	v_rcp_f32_e32 v15, v14
	v_fma_f32 v19, -v14, v15, 1.0
	v_fmac_f32_e32 v15, v19, v15
	v_div_scale_f32 v19, vcc, 1.0, v13, 1.0
	v_mul_f32_e32 v27, v19, v15
	v_fma_f32 v55, -v14, v27, v19
	v_fmac_f32_e32 v27, v55, v15
	v_fma_f32 v14, -v14, v27, v19
	v_div_fmas_f32 v14, v14, v15, v27
	v_div_fixup_f32 v13, v14, v13, 1.0
	v_mul_f32_e32 v14, 0x80000000, v12
	v_fmac_f32_e32 v14, v11, v8
	v_mul_f32_e32 v19, v14, v13
	v_mul_f32_e32 v14, 0x80000000, v11
	v_fma_f32 v14, -v12, v8, v14
	v_mul_f32_e32 v55, v14, v13
	v_mul_f32_e32 v14, 0x80000000, v10
	v_fmac_f32_e32 v14, v9, v8
	v_mul_f32_e32 v56, v14, v13
	v_mul_f32_e32 v14, 0x80000000, v9
	v_fma_f32 v8, -v10, v8, v14
	v_mul_f32_e32 v57, v8, v13
	v_mul_f32_e64 v8, v57, -v10
	v_fmac_f32_e32 v8, v9, v56
	v_mul_f32_e32 v9, v57, v9
	v_fmac_f32_e32 v9, v10, v56
	v_fmac_f32_e32 v8, v11, v19
	v_fmac_f32_e32 v9, v12, v19
	v_fma_f32 v8, -v12, v55, v8
	v_fmac_f32_e32 v9, v11, v55
	global_store_dwordx2 v[42:43], v[8:9], off
	s_waitcnt vmcnt(7)
	v_mul_f32_e32 v27, v55, v45
	v_mul_f32_e64 v43, v44, -v55
	v_mul_f32_e64 v10, v57, -v45
	v_mul_f32_e32 v11, v57, v44
	v_fmac_f32_e32 v27, v44, v19
	v_fmac_f32_e32 v43, v45, v19
	v_fmac_f32_e32 v10, v44, v56
	v_fmac_f32_e32 v11, v45, v56
	s_waitcnt vmcnt(6)
	v_fma_f32 v27, -v46, v56, v27
	v_fma_f32 v43, -v47, v56, v43
	v_fmac_f32_e32 v10, v46, v19
	v_fmac_f32_e32 v11, v47, v19
	v_fma_f32 v42, v47, -v57, v27
	v_fmac_f32_e32 v43, v46, v57
	v_fma_f32 v10, -v47, v55, v10
	v_fmac_f32_e32 v11, v46, v55
	global_store_dwordx2 v[40:41], v[42:43], off
	global_store_dwordx2 v[6:7], v[10:11], off
	s_waitcnt vmcnt(7)
	v_mul_f32_e32 v27, v55, v37
	v_mul_f32_e64 v40, v36, -v55
	v_mul_f32_e64 v12, v57, -v37
	v_mul_f32_e32 v13, v57, v36
	v_fmac_f32_e32 v27, v36, v19
	v_fmac_f32_e32 v40, v37, v19
	v_fmac_f32_e32 v12, v36, v56
	v_fmac_f32_e32 v13, v37, v56
	s_waitcnt vmcnt(6)
	v_fma_f32 v27, -v38, v56, v27
	v_fma_f32 v37, -v39, v56, v40
	v_fmac_f32_e32 v12, v38, v19
	v_fmac_f32_e32 v13, v39, v19
	v_fma_f32 v36, v39, -v57, v27
	v_fmac_f32_e32 v37, v38, v57
	v_fma_f32 v12, -v39, v55, v12
	v_fmac_f32_e32 v13, v38, v55
	global_store_dwordx2 v[30:31], v[36:37], off
	;; [unrolled: 20-line block ×3, first 2 shown]
	global_store_dwordx2 v[2:3], v[14:15], off
	s_waitcnt vmcnt(7)
	v_mul_f32_e32 v25, v55, v17
	v_mul_f32_e64 v26, v16, -v55
	v_fmac_f32_e32 v25, v16, v19
	v_fmac_f32_e32 v26, v17, v19
	global_store_dwordx2 v[22:23], v[25:26], off
	v_mul_f32_e64 v22, v57, -v17
	v_fmac_f32_e32 v22, v16, v56
	v_mul_f32_e32 v23, v57, v16
	v_add_u32_e32 v16, s17, v18
	v_fmac_f32_e32 v23, v17, v56
	v_ashrrev_i32_e32 v17, 31, v16
	v_lshlrev_b64 v[26:27], 3, v[16:17]
	v_mov_b32_e32 v44, s21
	v_add_co_u32_e32 v26, vcc, s20, v26
	v_addc_co_u32_e32 v27, vcc, v44, v27, vcc
	v_add_co_u32_e32 v20, vcc, s6, v20
	v_mov_b32_e32 v17, s7
	v_addc_co_u32_e32 v21, vcc, v17, v21, vcc
	v_add_co_u32_e32 v28, vcc, s6, v28
	v_addc_co_u32_e32 v29, vcc, v17, v29, vcc
	global_load_dwordx2 v[30:31], v[20:21], off
	global_load_dwordx2 v[32:33], v[28:29], off
                                        ; implicit-def: $vgpr45
	s_waitcnt vmcnt(0)
	v_mul_f32_e64 v17, v57, -v33
	v_fmac_f32_e32 v17, v32, v56
	v_mul_f32_e64 v25, -v55, v32
	v_mul_f32_e32 v35, v57, v32
	v_fmac_f32_e32 v17, v30, v19
	v_fmac_f32_e32 v25, v33, v19
	;; [unrolled: 1-line block ×3, first 2 shown]
	v_fma_f32 v34, -v31, v55, v17
	v_mul_f32_e32 v17, v55, v33
	v_fma_f32 v33, -v31, v56, v25
	v_ashrrev_i32_e32 v25, 31, v24
	v_fmac_f32_e32 v17, v32, v19
	v_lshlrev_b64 v[42:43], 3, v[24:25]
	v_fma_f32 v17, -v30, v56, v17
	v_fmac_f32_e32 v35, v31, v19
	v_fma_f32 v32, v31, -v57, v17
	v_add_co_u32_e32 v36, vcc, s10, v42
	v_mov_b32_e32 v17, s11
	v_fmac_f32_e32 v35, v30, v55
	v_fmac_f32_e32 v33, v30, v57
	v_addc_co_u32_e32 v37, vcc, v17, v43, vcc
	global_store_dwordx2 v[20:21], v[34:35], off
	global_store_dwordx2 v[28:29], v[32:33], off
	v_add_co_u32_e32 v32, vcc, s12, v42
	v_mov_b32_e32 v17, s13
	v_addc_co_u32_e32 v33, vcc, v17, v43, vcc
	global_load_dwordx2 v[40:41], v[36:37], off
	v_add_co_u32_e32 v28, vcc, s14, v42
	v_mov_b32_e32 v17, s15
	v_ashrrev_i32_e32 v19, 31, v18
	v_addc_co_u32_e32 v29, vcc, v17, v43, vcc
	v_lshlrev_b64 v[17:18], 3, v[18:19]
	global_store_dwordx2 v[26:27], v[22:23], off
	v_add_co_u32_e32 v24, vcc, s20, v17
	v_addc_co_u32_e32 v25, vcc, v44, v18, vcc
	global_load_dwordx2 v[38:39], v[32:33], off
	global_load_dwordx2 v[34:35], v[28:29], off
	;; [unrolled: 1-line block ×3, first 2 shown]
	v_mul_f32_e64 v44, v8, -v9
	v_fmac_f32_e32 v44, v9, v8
	v_mul_f32_e32 v19, v9, v9
	v_fmac_f32_e32 v19, v8, v8
	s_waitcnt vmcnt(4)
	v_fmac_f32_e32 v44, v41, v40
	v_fma_f32 v46, v40, -v41, v44
	v_fmac_f32_e32 v19, v40, v40
	v_cmp_gt_f32_e32 vcc, 0, v46
	v_fmac_f32_e32 v19, v41, v41
	v_cndmask_b32_e64 v44, v46, -v46, vcc
	v_cmp_ngt_f32_e32 vcc, v19, v44
	s_and_saveexec_b64 s[0:1], vcc
	s_xor_b64 s[4:5], exec, s[0:1]
	s_cbranch_execz .LBB8_14
; %bb.11:                               ;   in Loop: Header=BB8_4 Depth=1
	v_mov_b32_e32 v45, 0
	v_cmp_neq_f32_e32 vcc, 0, v46
	s_and_saveexec_b64 s[24:25], vcc
	s_cbranch_execz .LBB8_13
; %bb.12:                               ;   in Loop: Header=BB8_4 Depth=1
	v_div_scale_f32 v45, s[0:1], v44, v44, v19
	v_div_scale_f32 v46, vcc, v19, v44, v19
	v_rcp_f32_e32 v47, v45
	v_fma_f32 v55, -v45, v47, 1.0
	v_fmac_f32_e32 v47, v55, v47
	v_mul_f32_e32 v55, v46, v47
	v_fma_f32 v56, -v45, v55, v46
	v_fmac_f32_e32 v55, v56, v47
	v_fma_f32 v45, -v45, v55, v46
	v_div_fmas_f32 v45, v45, v47, v55
	v_div_fixup_f32 v19, v45, v44, v19
	v_fma_f32 v19, v19, v19, 1.0
	v_mul_f32_e32 v45, 0x4f800000, v19
	v_cmp_gt_f32_e32 vcc, s3, v19
	v_cndmask_b32_e32 v19, v19, v45, vcc
	v_sqrt_f32_e32 v45, v19
	v_add_u32_e32 v46, -1, v45
	v_add_u32_e32 v47, 1, v45
	v_fma_f32 v55, -v46, v45, v19
	v_fma_f32 v56, -v47, v45, v19
	v_cmp_ge_f32_e64 s[0:1], 0, v55
	v_cndmask_b32_e64 v45, v45, v46, s[0:1]
	v_cmp_lt_f32_e64 s[0:1], 0, v56
	v_cndmask_b32_e64 v45, v45, v47, s[0:1]
	v_mul_f32_e32 v46, 0x37800000, v45
	v_cndmask_b32_e32 v45, v45, v46, vcc
	v_cmp_class_f32_e32 vcc, v19, v54
	v_cndmask_b32_e32 v19, v45, v19, vcc
	v_mul_f32_e32 v45, v44, v19
.LBB8_13:                               ;   in Loop: Header=BB8_4 Depth=1
	s_or_b64 exec, exec, s[24:25]
                                        ; implicit-def: $vgpr19
                                        ; implicit-def: $vgpr44
.LBB8_14:                               ;   in Loop: Header=BB8_4 Depth=1
	s_andn2_saveexec_b64 s[4:5], s[4:5]
	s_cbranch_execz .LBB8_3
; %bb.15:                               ;   in Loop: Header=BB8_4 Depth=1
	v_div_scale_f32 v45, s[0:1], v19, v19, v44
	v_div_scale_f32 v46, vcc, v44, v19, v44
	v_rcp_f32_e32 v47, v45
	v_fma_f32 v55, -v45, v47, 1.0
	v_fmac_f32_e32 v47, v55, v47
	v_mul_f32_e32 v55, v46, v47
	v_fma_f32 v56, -v45, v55, v46
	v_fmac_f32_e32 v55, v56, v47
	v_fma_f32 v45, -v45, v55, v46
	v_div_fmas_f32 v45, v45, v47, v55
	v_div_fixup_f32 v44, v45, v19, v44
	v_fma_f32 v44, v44, v44, 1.0
	v_mul_f32_e32 v45, 0x4f800000, v44
	v_cmp_gt_f32_e32 vcc, s3, v44
	v_cndmask_b32_e32 v44, v44, v45, vcc
	v_sqrt_f32_e32 v45, v44
	v_add_u32_e32 v46, -1, v45
	v_add_u32_e32 v47, 1, v45
	v_fma_f32 v55, -v46, v45, v44
	v_fma_f32 v56, -v47, v45, v44
	v_cmp_ge_f32_e64 s[0:1], 0, v55
	v_cndmask_b32_e64 v45, v45, v46, s[0:1]
	v_cmp_lt_f32_e64 s[0:1], 0, v56
	v_cndmask_b32_e64 v45, v45, v47, s[0:1]
	v_mul_f32_e32 v46, 0x37800000, v45
	v_cndmask_b32_e32 v45, v45, v46, vcc
	v_cmp_class_f32_e32 vcc, v44, v54
	v_cndmask_b32_e32 v44, v45, v44, vcc
	v_mul_f32_e32 v45, v19, v44
	s_branch .LBB8_3
.LBB8_16:
	s_add_i32 s0, s16, -1
	s_mul_i32 s24, s18, s0
	v_add_u32_e32 v1, s24, v48
	v_ashrrev_i32_e32 v2, 31, v1
	v_lshlrev_b64 v[36:37], 3, v[1:2]
	s_waitcnt lgkmcnt(0)
	v_mov_b32_e32 v2, s9
	v_add_co_u32_e32 v1, vcc, s8, v36
	v_addc_co_u32_e32 v2, vcc, v2, v37, vcc
	s_sub_i32 s8, s24, s18
	global_load_dwordx2 v[24:25], v[1:2], off
	v_add_u32_e32 v1, s8, v48
	v_ashrrev_i32_e32 v2, 31, v1
	v_lshlrev_b64 v[40:41], 3, v[1:2]
	v_mov_b32_e32 v1, s11
	v_add_co_u32_e32 v22, vcc, s10, v40
	s_mul_i32 s0, s17, s26
	v_addc_co_u32_e32 v23, vcc, v1, v41, vcc
	v_add_u32_e32 v1, s0, v48
	v_ashrrev_i32_e32 v2, 31, v1
	v_add_u32_e32 v13, s17, v1
	v_lshlrev_b64 v[1:2], 3, v[1:2]
	v_mov_b32_e32 v6, s21
	v_add_co_u32_e32 v5, vcc, s20, v1
	v_addc_co_u32_e32 v6, vcc, v6, v2, vcc
	v_mov_b32_e32 v7, s11
	v_add_co_u32_e32 v34, vcc, s10, v36
	v_addc_co_u32_e32 v35, vcc, v7, v37, vcc
	v_mov_b32_e32 v8, s13
	v_add_co_u32_e32 v26, vcc, s12, v36
	v_ashrrev_i32_e32 v14, 31, v13
	v_addc_co_u32_e32 v27, vcc, v8, v37, vcc
	v_mov_b32_e32 v11, s15
	v_lshlrev_b64 v[3:4], 3, v[13:14]
	v_add_co_u32_e32 v14, vcc, s14, v36
	v_addc_co_u32_e32 v15, vcc, v11, v37, vcc
	v_mov_b32_e32 v12, s21
	v_add_co_u32_e32 v7, vcc, s20, v3
	v_addc_co_u32_e32 v8, vcc, v12, v4, vcc
	v_mov_b32_e32 v9, s13
	;; [unrolled: 3-line block ×3, first 2 shown]
	v_add_co_u32_e32 v16, vcc, s14, v40
	v_addc_co_u32_e32 v17, vcc, v10, v41, vcc
	global_load_dwordx2 v[38:39], v[22:23], off
	global_load_dwordx2 v[32:33], v[34:35], off
	;; [unrolled: 1-line block ×8, first 2 shown]
                                        ; implicit-def: $vgpr42
	s_waitcnt vmcnt(8)
	v_mul_f32_e64 v44, v24, -v25
	v_fmac_f32_e32 v44, v25, v24
	v_mul_f32_e32 v43, v25, v25
	v_fmac_f32_e32 v43, v24, v24
	s_waitcnt vmcnt(7)
	v_fmac_f32_e32 v44, v39, v38
	v_fma_f32 v45, v38, -v39, v44
	v_fmac_f32_e32 v43, v38, v38
	v_cmp_gt_f32_e32 vcc, 0, v45
	v_fmac_f32_e32 v43, v39, v39
	v_cndmask_b32_e64 v44, v45, -v45, vcc
	v_cmp_ngt_f32_e32 vcc, v43, v44
	s_and_saveexec_b64 s[0:1], vcc
	s_xor_b64 s[2:3], exec, s[0:1]
	s_cbranch_execz .LBB8_20
; %bb.17:
	v_mov_b32_e32 v42, 0
	v_cmp_neq_f32_e32 vcc, 0, v45
	s_and_saveexec_b64 s[4:5], vcc
	s_cbranch_execz .LBB8_19
; %bb.18:
	v_div_scale_f32 v42, s[0:1], v44, v44, v43
	v_div_scale_f32 v45, vcc, v43, v44, v43
	s_mov_b32 s0, 0xf800000
	v_rcp_f32_e32 v46, v42
	v_fma_f32 v47, -v42, v46, 1.0
	v_fmac_f32_e32 v46, v47, v46
	v_mul_f32_e32 v47, v45, v46
	v_fma_f32 v49, -v42, v47, v45
	v_fmac_f32_e32 v47, v49, v46
	v_fma_f32 v42, -v42, v47, v45
	v_div_fmas_f32 v42, v42, v46, v47
	v_mov_b32_e32 v45, 0x260
	v_div_fixup_f32 v42, v42, v44, v43
	v_fma_f32 v42, v42, v42, 1.0
	v_mul_f32_e32 v43, 0x4f800000, v42
	v_cmp_gt_f32_e32 vcc, s0, v42
	v_cndmask_b32_e32 v42, v42, v43, vcc
	v_sqrt_f32_e32 v43, v42
	v_add_u32_e32 v46, -1, v43
	v_add_u32_e32 v47, 1, v43
	v_fma_f32 v49, -v46, v43, v42
	v_fma_f32 v50, -v47, v43, v42
	v_cmp_ge_f32_e64 s[0:1], 0, v49
	v_cndmask_b32_e64 v43, v43, v46, s[0:1]
	v_cmp_lt_f32_e64 s[0:1], 0, v50
	v_cndmask_b32_e64 v43, v43, v47, s[0:1]
	v_mul_f32_e32 v46, 0x37800000, v43
	v_cndmask_b32_e32 v43, v43, v46, vcc
	v_cmp_class_f32_e32 vcc, v42, v45
	v_cndmask_b32_e32 v42, v43, v42, vcc
	v_mul_f32_e32 v42, v44, v42
.LBB8_19:
	s_or_b64 exec, exec, s[4:5]
                                        ; implicit-def: $vgpr43
                                        ; implicit-def: $vgpr44
.LBB8_20:
	s_andn2_saveexec_b64 s[4:5], s[2:3]
	s_cbranch_execz .LBB8_22
; %bb.21:
	v_div_scale_f32 v42, s[0:1], v43, v43, v44
	v_div_scale_f32 v45, vcc, v44, v43, v44
	s_mov_b32 s0, 0xf800000
	v_rcp_f32_e32 v46, v42
	v_fma_f32 v47, -v42, v46, 1.0
	v_fmac_f32_e32 v46, v47, v46
	v_mul_f32_e32 v47, v45, v46
	v_fma_f32 v49, -v42, v47, v45
	v_fmac_f32_e32 v47, v49, v46
	v_fma_f32 v42, -v42, v47, v45
	v_div_fmas_f32 v42, v42, v46, v47
	v_mov_b32_e32 v45, 0x260
	v_div_fixup_f32 v42, v42, v43, v44
	v_fma_f32 v42, v42, v42, 1.0
	v_mul_f32_e32 v44, 0x4f800000, v42
	v_cmp_gt_f32_e32 vcc, s0, v42
	v_cndmask_b32_e32 v42, v42, v44, vcc
	v_sqrt_f32_e32 v44, v42
	v_add_u32_e32 v46, -1, v44
	v_add_u32_e32 v47, 1, v44
	v_fma_f32 v49, -v46, v44, v42
	v_fma_f32 v50, -v47, v44, v42
	v_cmp_ge_f32_e64 s[0:1], 0, v49
	v_cmp_lt_f32_e64 s[2:3], 0, v50
	v_cndmask_b32_e64 v44, v44, v46, s[0:1]
	v_cndmask_b32_e64 v44, v44, v47, s[2:3]
	v_mul_f32_e32 v46, 0x37800000, v44
	v_cndmask_b32_e32 v44, v44, v46, vcc
	v_cmp_class_f32_e32 vcc, v42, v45
	v_cndmask_b32_e32 v42, v44, v42, vcc
	v_mul_f32_e32 v42, v43, v42
.LBB8_22:
	s_or_b64 exec, exec, s[4:5]
	v_mov_b32_e32 v43, s7
	v_add_co_u32_e32 v36, vcc, s6, v36
	v_addc_co_u32_e32 v37, vcc, v43, v37, vcc
	global_load_dwordx2 v[43:44], v[36:37], off
	v_mov_b32_e32 v45, s7
	v_add_co_u32_e32 v40, vcc, s6, v40
	v_addc_co_u32_e32 v41, vcc, v45, v41, vcc
	global_load_dwordx2 v[45:46], v[40:41], off
	s_mov_b32 s0, 0xf800000
	v_mul_f32_e32 v47, 0x4f800000, v42
	v_cmp_gt_f32_e32 vcc, s0, v42
	v_cndmask_b32_e32 v42, v42, v47, vcc
	v_sqrt_f32_e32 v47, v42
	v_mov_b32_e32 v49, 0x260
	s_sub_i32 s2, s8, s18
	v_add_u32_e32 v50, -1, v47
	v_add_u32_e32 v51, 1, v47
	v_fma_f32 v52, -v50, v47, v42
	v_fma_f32 v53, -v51, v47, v42
	v_cmp_ge_f32_e64 s[0:1], 0, v52
	v_cndmask_b32_e64 v47, v47, v50, s[0:1]
	v_cmp_lt_f32_e64 s[0:1], 0, v53
	v_cndmask_b32_e64 v47, v47, v51, s[0:1]
	v_mul_f32_e32 v50, 0x37800000, v47
	v_cndmask_b32_e32 v47, v47, v50, vcc
	v_cmp_class_f32_e32 vcc, v42, v49
	v_cndmask_b32_e32 v42, v47, v42, vcc
	v_fma_f32 v47, v42, v42, 0
	v_div_scale_f32 v49, s[0:1], v47, v47, 1.0
	v_div_scale_f32 v50, vcc, 1.0, v47, 1.0
	v_rcp_f32_e32 v51, v49
	v_fma_f32 v52, -v49, v51, 1.0
	v_fmac_f32_e32 v51, v52, v51
	v_mul_f32_e32 v52, v50, v51
	v_fma_f32 v53, -v49, v52, v50
	v_fmac_f32_e32 v52, v53, v51
	v_fma_f32 v49, -v49, v52, v50
	v_div_fmas_f32 v49, v49, v51, v52
	v_mul_f32_e32 v50, 0x80000000, v39
	v_mul_f32_e32 v51, 0x80000000, v38
	;; [unrolled: 1-line block ×4, first 2 shown]
	v_fmac_f32_e32 v50, v38, v42
	v_fma_f32 v51, -v39, v42, v51
	v_fmac_f32_e32 v52, v24, v42
	v_fma_f32 v42, -v25, v42, v53
	v_div_fixup_f32 v47, v49, v47, 1.0
	v_mul_f32_e32 v53, v50, v47
	v_mul_f32_e32 v51, v51, v47
	;; [unrolled: 1-line block ×4, first 2 shown]
	s_waitcnt vmcnt(1)
	v_mul_f32_e64 v42, v47, -v44
	v_mul_f32_e32 v50, v47, v43
	v_mul_f32_e32 v49, v51, v44
	v_mul_f32_e64 v54, -v51, v43
	v_fmac_f32_e32 v42, v43, v52
	v_fmac_f32_e32 v50, v44, v52
	;; [unrolled: 1-line block ×4, first 2 shown]
	s_waitcnt vmcnt(0)
	v_fmac_f32_e32 v42, v45, v53
	v_fmac_f32_e32 v50, v46, v53
	v_fma_f32 v44, -v45, v52, v49
	v_fma_f32 v43, -v46, v52, v54
	;; [unrolled: 1-line block ×3, first 2 shown]
	v_fmac_f32_e32 v50, v45, v51
	v_fma_f32 v42, v46, -v47, v44
	v_fmac_f32_e32 v43, v45, v47
	global_store_dwordx2 v[40:41], v[49:50], off
	global_store_dwordx2 v[36:37], v[42:43], off
	global_load_dwordx2 v[42:43], v[36:37], off
	v_mul_f32_e64 v44, v47, -v25
	v_mul_f32_e32 v45, v47, v24
	v_mul_f32_e32 v46, v51, v33
	v_mul_f32_e64 v49, v32, -v51
	v_fmac_f32_e32 v44, v24, v52
	v_fmac_f32_e32 v45, v25, v52
	;; [unrolled: 1-line block ×6, first 2 shown]
	v_fma_f32 v24, -v30, v52, v46
	v_fma_f32 v25, -v31, v52, v49
	v_fma_f32 v44, -v39, v51, v44
	v_fmac_f32_e32 v45, v38, v51
	v_fma_f32 v24, v31, -v47, v24
	v_fmac_f32_e32 v25, v30, v47
	global_store_dwordx2 v[22:23], v[44:45], off
	global_store_dwordx2 v[34:35], v[24:25], off
	global_load_dwordx2 v[22:23], v[22:23], off
	v_mul_f32_e32 v39, v25, v25
	v_fmac_f32_e32 v39, v24, v24
	v_div_scale_f32 v46, s[0:1], v39, v39, 1.0
	v_div_scale_f32 v35, vcc, 1.0, v39, 1.0
	v_mul_f32_e64 v38, v47, -v33
	v_mul_f32_e32 v34, v47, v32
	v_mul_f32_e32 v45, v51, v19
	v_mul_f32_e64 v49, v18, -v51
	v_fmac_f32_e32 v38, v32, v52
	v_fmac_f32_e32 v34, v33, v52
	;; [unrolled: 1-line block ×6, first 2 shown]
	v_fma_f32 v32, -v21, v52, v49
	v_fma_f32 v33, -v31, v51, v38
	v_rcp_f32_e32 v44, v46
	v_fmac_f32_e32 v34, v30, v51
	v_fmac_f32_e32 v32, v20, v47
	v_add_u32_e32 v30, s2, v48
	v_fma_f32 v50, -v46, v44, 1.0
	v_fmac_f32_e32 v44, v50, v44
	v_mul_f32_e32 v50, v35, v44
	v_fma_f32 v54, -v46, v50, v35
	v_fmac_f32_e32 v50, v54, v44
	v_fma_f32 v35, -v46, v50, v35
	v_div_fmas_f32 v35, v35, v44, v50
	v_fma_f32 v44, -v20, v52, v45
	v_fma_f32 v31, v21, -v47, v44
	global_store_dwordx2 v[28:29], v[33:34], off
	global_store_dwordx2 v[26:27], v[31:32], off
	global_load_dwordx2 v[26:27], v[28:29], off
	v_ashrrev_i32_e32 v31, 31, v30
	v_lshlrev_b64 v[30:31], 3, v[30:31]
	v_mov_b32_e32 v33, s7
	v_add_co_u32_e32 v32, vcc, s6, v30
	v_addc_co_u32_e32 v33, vcc, v33, v31, vcc
	v_add_co_u32_e32 v34, vcc, s10, v30
	v_mul_f32_e32 v49, v51, v12
	v_mul_f32_e64 v50, v11, -v51
	v_div_fixup_f32 v28, v35, v39, 1.0
	v_mov_b32_e32 v35, s11
	v_addc_co_u32_e32 v35, vcc, v35, v31, vcc
	v_mov_b32_e32 v39, s13
	v_add_co_u32_e32 v38, vcc, s12, v30
	v_addc_co_u32_e32 v39, vcc, v39, v31, vcc
	v_fmac_f32_e32 v49, v11, v53
	v_fmac_f32_e32 v50, v12, v53
	global_load_dwordx2 v[34:35], v[34:35], off
	s_waitcnt vmcnt(7)
	v_mul_f32_e32 v29, v25, v43
	v_mul_f32_e64 v25, v25, -v42
	v_fmac_f32_e32 v29, v42, v24
	v_fmac_f32_e32 v25, v43, v24
	v_mul_f32_e32 v24, v28, v29
	v_mul_f32_e32 v25, v25, v28
	global_store_dwordx2 v[36:37], v[24:25], off
	global_load_dwordx2 v[28:29], v[40:41], off
	v_mov_b32_e32 v42, s15
	v_mul_f32_e32 v43, v47, v18
	v_fmac_f32_e32 v43, v19, v52
	v_fmac_f32_e32 v43, v21, v53
	;; [unrolled: 1-line block ×3, first 2 shown]
	s_waitcnt vmcnt(6)
	v_mul_f32_e32 v44, v23, v23
	v_fmac_f32_e32 v44, v22, v22
	v_div_scale_f32 v45, s[0:1], v44, v44, 1.0
	v_div_scale_f32 v46, vcc, 1.0, v44, 1.0
	v_add_co_u32_e64 v30, s[0:1], s14, v30
	v_addc_co_u32_e64 v31, s[0:1], v42, v31, s[0:1]
	v_mul_f32_e64 v42, v47, -v19
	v_fmac_f32_e32 v42, v18, v52
	v_fmac_f32_e32 v42, v20, v53
	v_fma_f32 v42, -v21, v51, v42
	v_rcp_f32_e32 v18, v45
	v_fma_f32 v19, -v45, v18, 1.0
	v_fmac_f32_e32 v18, v19, v18
	v_mul_f32_e32 v19, v46, v18
	v_fma_f32 v54, -v45, v19, v46
	v_fmac_f32_e32 v19, v54, v18
	v_fma_f32 v45, -v45, v19, v46
	v_div_fmas_f32 v45, v45, v18, v19
	v_fma_f32 v18, -v9, v52, v49
	v_fma_f32 v19, -v10, v52, v50
	v_fma_f32 v18, v10, -v47, v18
	v_fmac_f32_e32 v19, v9, v47
	global_store_dwordx2 v[16:17], v[42:43], off
	global_store_dwordx2 v[14:15], v[18:19], off
	global_load_dwordx2 v[14:15], v[38:39], off
	s_waitcnt vmcnt(6)
	v_mul_f32_e64 v16, v25, -v27
	v_mul_f32_e32 v17, v25, v26
	v_fmac_f32_e32 v16, v26, v24
	v_fmac_f32_e32 v17, v27, v24
	v_mov_b32_e32 v39, s11
	v_mov_b32_e32 v42, s15
	v_div_fixup_f32 v18, v45, v44, 1.0
	s_waitcnt vmcnt(5)
	v_mul_f32_e32 v44, v35, v35
	v_fmac_f32_e32 v44, v34, v34
	s_waitcnt vmcnt(3)
	v_sub_f32_e32 v16, v28, v16
	v_sub_f32_e32 v17, v29, v17
	v_mul_f32_e32 v19, v23, v17
	v_mul_f32_e64 v20, v23, -v16
	v_fmac_f32_e32 v19, v16, v22
	v_fmac_f32_e32 v20, v17, v22
	v_mul_f32_e32 v16, v18, v19
	v_mul_f32_e32 v17, v18, v20
	global_store_dwordx2 v[40:41], v[16:17], off
	global_load_dwordx2 v[18:19], v[32:33], off
	global_load_dwordx2 v[20:21], v[30:31], off
	global_load_dwordx2 v[22:23], v[36:37], off
	v_mov_b32_e32 v29, s7
	v_mov_b32_e32 v31, s13
	s_waitcnt vmcnt(4)
	v_mad_u64_u32 v[24:25], s[0:1], s17, -3, v[13:14]
	s_sub_i32 s0, s2, s18
	v_add_u32_e32 v25, s0, v48
	v_ashrrev_i32_e32 v26, 31, v25
	v_lshlrev_b64 v[26:27], 3, v[25:26]
	v_div_scale_f32 v43, s[0:1], v44, v44, 1.0
	v_add_co_u32_e32 v28, vcc, s6, v26
	v_addc_co_u32_e32 v29, vcc, v29, v27, vcc
	v_add_co_u32_e64 v38, s[0:1], s10, v26
	v_add_co_u32_e32 v30, vcc, s12, v26
	v_addc_co_u32_e64 v39, s[0:1], v39, v27, s[0:1]
	v_addc_co_u32_e32 v31, vcc, v31, v27, vcc
	global_load_dwordx2 v[38:39], v[38:39], off
	v_div_scale_f32 v45, vcc, 1.0, v44, 1.0
	v_add_co_u32_e64 v26, s[0:1], s14, v26
	v_ashrrev_i32_e32 v25, 31, v24
	v_addc_co_u32_e64 v27, s[0:1], v42, v27, s[0:1]
	v_rcp_f32_e32 v42, v43
	v_lshlrev_b64 v[24:25], 3, v[24:25]
	v_mov_b32_e32 v13, s21
	v_add_co_u32_e64 v24, s[0:1], s20, v24
	v_addc_co_u32_e64 v25, s[0:1], v13, v25, s[0:1]
	v_fma_f32 v13, -v43, v42, 1.0
	v_fmac_f32_e32 v42, v13, v42
	v_mul_f32_e32 v13, v45, v42
	v_fma_f32 v46, -v43, v13, v45
	v_fmac_f32_e32 v13, v46, v42
	v_fma_f32 v43, -v43, v13, v45
	v_div_fmas_f32 v45, v43, v42, v13
	v_mul_f32_e64 v46, v47, -v12
	v_mul_f32_e32 v13, v47, v11
	v_fmac_f32_e32 v46, v11, v52
	v_fmac_f32_e32 v13, v12, v52
	;; [unrolled: 1-line block ×4, first 2 shown]
	v_mul_f32_e32 v42, v51, v4
	v_mul_f32_e64 v43, v3, -v51
	v_fma_f32 v12, -v10, v51, v46
	v_fmac_f32_e32 v13, v9, v51
	v_fmac_f32_e32 v42, v3, v53
	;; [unrolled: 1-line block ×3, first 2 shown]
	global_store_dwordx2 v[5:6], v[12:13], off
	global_store_dwordx2 v[7:8], v[42:43], off
	v_mul_f32_e64 v7, v17, -v15
	v_mul_f32_e32 v9, v17, v14
	v_fmac_f32_e32 v7, v14, v16
	v_fmac_f32_e32 v9, v15, v16
	s_waitcnt vmcnt(3)
	v_mul_f32_e64 v10, v23, -v21
	v_mul_f32_e32 v11, v23, v20
	v_sub_f32_e32 v7, v18, v7
	v_sub_f32_e32 v9, v19, v9
	v_fmac_f32_e32 v10, v20, v22
	v_fmac_f32_e32 v11, v21, v22
	v_sub_f32_e32 v7, v7, v10
	v_sub_f32_e32 v9, v9, v11
	v_mul_f32_e32 v10, v35, v9
	v_mul_f32_e64 v11, v35, -v7
	v_div_fixup_f32 v8, v45, v44, 1.0
	v_fmac_f32_e32 v10, v7, v34
	v_fmac_f32_e32 v11, v9, v34
	global_load_dwordx2 v[5:6], v[30:31], off
	v_mul_f32_e32 v7, v8, v10
	v_mul_f32_e32 v8, v8, v11
	global_store_dwordx2 v[32:33], v[7:8], off
	global_load_dwordx2 v[9:10], v[28:29], off
	global_load_dwordx2 v[11:12], v[26:27], off
	;; [unrolled: 1-line block ×5, first 2 shown]
	s_cmp_lt_i32 s16, 5
	s_waitcnt vmcnt(9)
	v_mul_f32_e32 v21, v39, v39
	v_fmac_f32_e32 v21, v38, v38
	v_div_scale_f32 v19, s[0:1], v21, v21, 1.0
	v_div_scale_f32 v20, vcc, 1.0, v21, 1.0
	v_rcp_f32_e32 v22, v19
	v_fma_f32 v23, -v19, v22, 1.0
	v_fmac_f32_e32 v22, v23, v22
	v_mul_f32_e32 v23, v20, v22
	v_fma_f32 v24, -v19, v23, v20
	v_fmac_f32_e32 v23, v24, v22
	v_fma_f32 v19, -v19, v23, v20
	v_div_fmas_f32 v22, v19, v22, v23
	v_mov_b32_e32 v19, s23
	v_add_co_u32_e32 v1, vcc, s22, v1
	v_addc_co_u32_e32 v2, vcc, v19, v2, vcc
	v_mul_f32_e64 v19, v47, -v4
	v_mul_f32_e32 v20, v47, v3
	v_fmac_f32_e32 v19, v3, v52
	v_fmac_f32_e32 v20, v4, v52
	global_store_dwordx2 v[1:2], v[19:20], off
	v_div_fixup_f32 v2, v22, v21, 1.0
	s_waitcnt vmcnt(7)
	v_mul_f32_e64 v1, v8, -v6
	v_mul_f32_e32 v3, v8, v5
	v_fmac_f32_e32 v1, v5, v7
	v_fmac_f32_e32 v3, v6, v7
	s_waitcnt vmcnt(3)
	v_mul_f32_e64 v4, v14, -v12
	v_mul_f32_e32 v5, v14, v11
	v_sub_f32_e32 v1, v9, v1
	v_sub_f32_e32 v3, v10, v3
	s_waitcnt vmcnt(1)
	v_mul_f32_e64 v6, v18, -v16
	v_mul_f32_e32 v7, v18, v15
	v_fmac_f32_e32 v4, v11, v13
	v_fmac_f32_e32 v5, v12, v13
	;; [unrolled: 1-line block ×4, first 2 shown]
	v_sub_f32_e32 v1, v1, v4
	v_sub_f32_e32 v3, v3, v5
	;; [unrolled: 1-line block ×4, first 2 shown]
	v_mul_f32_e32 v4, v39, v3
	v_mul_f32_e64 v5, v39, -v1
	v_fmac_f32_e32 v4, v1, v38
	v_fmac_f32_e32 v5, v3, v38
	v_mul_f32_e32 v1, v2, v4
	v_mul_f32_e32 v2, v2, v5
	global_store_dwordx2 v[28:29], v[1:2], off
	s_cbranch_scc1 .LBB8_25
; %bb.23:
	s_add_i32 s1, s16, -5
	s_add_i32 s0, s16, -4
	s_mul_i32 s2, s17, s1
	v_add_u32_e32 v1, s2, v0
	s_mul_i32 s2, s18, s0
	v_add_u32_e32 v2, s2, v0
	s_add_i32 s2, s16, -3
	s_mul_i32 s2, s18, s2
	v_add_u32_e32 v3, s2, v0
	s_mul_i32 s2, s18, s26
	s_mul_i32 s1, s18, s1
	v_add_u32_e32 v4, s2, v0
	v_add_u32_e32 v5, s24, v0
	;; [unrolled: 1-line block ×3, first 2 shown]
.LBB8_24:                               ; =>This Inner Loop Header: Depth=1
	v_add_u32_e32 v6, s19, v0
	v_ashrrev_i32_e32 v7, 31, v6
	v_lshlrev_b64 v[6:7], 3, v[6:7]
	v_mov_b32_e32 v26, s7
	v_add_u32_e32 v8, s19, v2
	v_add_co_u32_e32 v18, vcc, s6, v6
	v_ashrrev_i32_e32 v9, 31, v8
	v_addc_co_u32_e32 v19, vcc, v26, v7, vcc
	v_mov_b32_e32 v21, s13
	v_lshlrev_b64 v[8:9], 3, v[8:9]
	v_add_co_u32_e32 v20, vcc, s12, v6
	v_addc_co_u32_e32 v21, vcc, v21, v7, vcc
	v_add_u32_e32 v10, s19, v3
	v_add_co_u32_e32 v8, vcc, s6, v8
	v_ashrrev_i32_e32 v11, 31, v10
	v_addc_co_u32_e32 v9, vcc, v26, v9, vcc
	v_mov_b32_e32 v23, s15
	v_add_u32_e32 v12, s19, v1
	v_lshlrev_b64 v[10:11], 3, v[10:11]
	v_add_co_u32_e32 v22, vcc, s14, v6
	v_ashrrev_i32_e32 v13, 31, v12
	v_addc_co_u32_e32 v23, vcc, v23, v7, vcc
	v_add_u32_e32 v14, s19, v4
	v_lshlrev_b64 v[12:13], 3, v[12:13]
	v_add_co_u32_e32 v10, vcc, s6, v10
	v_ashrrev_i32_e32 v15, 31, v14
	v_addc_co_u32_e32 v11, vcc, v26, v11, vcc
	v_mov_b32_e32 v25, s21
	v_lshlrev_b64 v[14:15], 3, v[14:15]
	v_add_co_u32_e32 v24, vcc, s20, v12
	v_addc_co_u32_e32 v25, vcc, v25, v13, vcc
	v_add_u32_e32 v16, s19, v5
	v_add_co_u32_e32 v14, vcc, s6, v14
	v_ashrrev_i32_e32 v17, 31, v16
	v_addc_co_u32_e32 v15, vcc, v26, v15, vcc
	v_mov_b32_e32 v27, s23
	v_lshlrev_b64 v[16:17], 3, v[16:17]
	v_add_co_u32_e32 v12, vcc, s22, v12
	v_addc_co_u32_e32 v13, vcc, v27, v13, vcc
	v_add_co_u32_e32 v16, vcc, s6, v16
	v_addc_co_u32_e32 v17, vcc, v26, v17, vcc
	v_mov_b32_e32 v28, s11
	v_add_co_u32_e32 v6, vcc, s10, v6
	v_addc_co_u32_e32 v7, vcc, v28, v7, vcc
	global_load_dwordx2 v[26:27], v[20:21], off
	global_load_dwordx2 v[28:29], v[8:9], off
	;; [unrolled: 1-line block ×10, first 2 shown]
	s_add_i32 s0, s0, -1
	v_subrev_u32_e32 v1, s17, v1
	v_subrev_u32_e32 v2, s18, v2
	;; [unrolled: 1-line block ×6, first 2 shown]
	s_cmp_lg_u32 s0, 0
	s_waitcnt vmcnt(8)
	v_mul_f32_e64 v6, v29, -v27
	v_mul_f32_e32 v7, v29, v26
	s_waitcnt vmcnt(6)
	v_mul_f32_e32 v10, v33, v33
	v_fmac_f32_e32 v10, v32, v32
	v_div_scale_f32 v11, s[2:3], v10, v10, 1.0
	v_div_scale_f32 v14, vcc, 1.0, v10, 1.0
	s_waitcnt vmcnt(5)
	v_mul_f32_e64 v8, v35, -v31
	v_mul_f32_e32 v9, v35, v30
	v_fmac_f32_e32 v6, v26, v28
	v_fmac_f32_e32 v7, v27, v28
	s_waitcnt vmcnt(3)
	v_mul_f32_e64 v12, v39, -v37
	v_mul_f32_e32 v13, v39, v36
	v_fmac_f32_e32 v8, v30, v34
	v_fmac_f32_e32 v9, v31, v34
	s_waitcnt vmcnt(2)
	v_sub_f32_e32 v6, v40, v6
	v_sub_f32_e32 v7, v41, v7
	s_waitcnt vmcnt(0)
	v_mul_f32_e64 v15, v45, -v43
	v_mul_f32_e32 v16, v45, v42
	v_rcp_f32_e32 v17, v11
	v_fmac_f32_e32 v12, v36, v38
	v_fmac_f32_e32 v13, v37, v38
	v_sub_f32_e32 v6, v6, v8
	v_fma_f32 v20, -v11, v17, 1.0
	v_fmac_f32_e32 v17, v20, v17
	v_mul_f32_e32 v20, v14, v17
	v_fma_f32 v21, -v11, v20, v14
	v_fmac_f32_e32 v20, v21, v17
	v_fma_f32 v11, -v11, v20, v14
	v_div_fmas_f32 v11, v11, v17, v20
	v_sub_f32_e32 v7, v7, v9
	v_fmac_f32_e32 v15, v42, v44
	v_fmac_f32_e32 v16, v43, v44
	v_sub_f32_e32 v6, v6, v12
	v_sub_f32_e32 v7, v7, v13
	;; [unrolled: 1-line block ×4, first 2 shown]
	v_mul_f32_e32 v8, v33, v7
	v_mul_f32_e64 v9, v33, -v6
	v_fmac_f32_e32 v8, v6, v32
	v_fmac_f32_e32 v9, v7, v32
	v_div_fixup_f32 v7, v11, v10, 1.0
	v_mul_f32_e32 v6, v7, v8
	v_mul_f32_e32 v7, v7, v9
	global_store_dwordx2 v[18:19], v[6:7], off
	s_cbranch_scc1 .LBB8_24
.LBB8_25:
	s_endpgm
	.section	.rodata,"a",@progbits
	.p2align	6, 0x0
	.amdhsa_kernel _ZN9rocsparseL39gpsv_interleaved_batch_givens_qr_kernelILj128E21rocsparse_complex_numIfEEEviiiPT0_S4_S4_S4_S4_S4_S4_S4_
		.amdhsa_group_segment_fixed_size 0
		.amdhsa_private_segment_fixed_size 0
		.amdhsa_kernarg_size 80
		.amdhsa_user_sgpr_count 6
		.amdhsa_user_sgpr_private_segment_buffer 1
		.amdhsa_user_sgpr_dispatch_ptr 0
		.amdhsa_user_sgpr_queue_ptr 0
		.amdhsa_user_sgpr_kernarg_segment_ptr 1
		.amdhsa_user_sgpr_dispatch_id 0
		.amdhsa_user_sgpr_flat_scratch_init 0
		.amdhsa_user_sgpr_private_segment_size 0
		.amdhsa_uses_dynamic_stack 0
		.amdhsa_system_sgpr_private_segment_wavefront_offset 0
		.amdhsa_system_sgpr_workgroup_id_x 1
		.amdhsa_system_sgpr_workgroup_id_y 0
		.amdhsa_system_sgpr_workgroup_id_z 0
		.amdhsa_system_sgpr_workgroup_info 0
		.amdhsa_system_vgpr_workitem_id 0
		.amdhsa_next_free_vgpr 62
		.amdhsa_next_free_sgpr 29
		.amdhsa_reserve_vcc 1
		.amdhsa_reserve_flat_scratch 0
		.amdhsa_float_round_mode_32 0
		.amdhsa_float_round_mode_16_64 0
		.amdhsa_float_denorm_mode_32 3
		.amdhsa_float_denorm_mode_16_64 3
		.amdhsa_dx10_clamp 1
		.amdhsa_ieee_mode 1
		.amdhsa_fp16_overflow 0
		.amdhsa_exception_fp_ieee_invalid_op 0
		.amdhsa_exception_fp_denorm_src 0
		.amdhsa_exception_fp_ieee_div_zero 0
		.amdhsa_exception_fp_ieee_overflow 0
		.amdhsa_exception_fp_ieee_underflow 0
		.amdhsa_exception_fp_ieee_inexact 0
		.amdhsa_exception_int_div_zero 0
	.end_amdhsa_kernel
	.section	.text._ZN9rocsparseL39gpsv_interleaved_batch_givens_qr_kernelILj128E21rocsparse_complex_numIfEEEviiiPT0_S4_S4_S4_S4_S4_S4_S4_,"axG",@progbits,_ZN9rocsparseL39gpsv_interleaved_batch_givens_qr_kernelILj128E21rocsparse_complex_numIfEEEviiiPT0_S4_S4_S4_S4_S4_S4_S4_,comdat
.Lfunc_end8:
	.size	_ZN9rocsparseL39gpsv_interleaved_batch_givens_qr_kernelILj128E21rocsparse_complex_numIfEEEviiiPT0_S4_S4_S4_S4_S4_S4_S4_, .Lfunc_end8-_ZN9rocsparseL39gpsv_interleaved_batch_givens_qr_kernelILj128E21rocsparse_complex_numIfEEEviiiPT0_S4_S4_S4_S4_S4_S4_S4_
                                        ; -- End function
	.set _ZN9rocsparseL39gpsv_interleaved_batch_givens_qr_kernelILj128E21rocsparse_complex_numIfEEEviiiPT0_S4_S4_S4_S4_S4_S4_S4_.num_vgpr, 62
	.set _ZN9rocsparseL39gpsv_interleaved_batch_givens_qr_kernelILj128E21rocsparse_complex_numIfEEEviiiPT0_S4_S4_S4_S4_S4_S4_S4_.num_agpr, 0
	.set _ZN9rocsparseL39gpsv_interleaved_batch_givens_qr_kernelILj128E21rocsparse_complex_numIfEEEviiiPT0_S4_S4_S4_S4_S4_S4_S4_.numbered_sgpr, 29
	.set _ZN9rocsparseL39gpsv_interleaved_batch_givens_qr_kernelILj128E21rocsparse_complex_numIfEEEviiiPT0_S4_S4_S4_S4_S4_S4_S4_.num_named_barrier, 0
	.set _ZN9rocsparseL39gpsv_interleaved_batch_givens_qr_kernelILj128E21rocsparse_complex_numIfEEEviiiPT0_S4_S4_S4_S4_S4_S4_S4_.private_seg_size, 0
	.set _ZN9rocsparseL39gpsv_interleaved_batch_givens_qr_kernelILj128E21rocsparse_complex_numIfEEEviiiPT0_S4_S4_S4_S4_S4_S4_S4_.uses_vcc, 1
	.set _ZN9rocsparseL39gpsv_interleaved_batch_givens_qr_kernelILj128E21rocsparse_complex_numIfEEEviiiPT0_S4_S4_S4_S4_S4_S4_S4_.uses_flat_scratch, 0
	.set _ZN9rocsparseL39gpsv_interleaved_batch_givens_qr_kernelILj128E21rocsparse_complex_numIfEEEviiiPT0_S4_S4_S4_S4_S4_S4_S4_.has_dyn_sized_stack, 0
	.set _ZN9rocsparseL39gpsv_interleaved_batch_givens_qr_kernelILj128E21rocsparse_complex_numIfEEEviiiPT0_S4_S4_S4_S4_S4_S4_S4_.has_recursion, 0
	.set _ZN9rocsparseL39gpsv_interleaved_batch_givens_qr_kernelILj128E21rocsparse_complex_numIfEEEviiiPT0_S4_S4_S4_S4_S4_S4_S4_.has_indirect_call, 0
	.section	.AMDGPU.csdata,"",@progbits
; Kernel info:
; codeLenInByte = 6304
; TotalNumSgprs: 33
; NumVgprs: 62
; ScratchSize: 0
; MemoryBound: 0
; FloatMode: 240
; IeeeMode: 1
; LDSByteSize: 0 bytes/workgroup (compile time only)
; SGPRBlocks: 4
; VGPRBlocks: 15
; NumSGPRsForWavesPerEU: 33
; NumVGPRsForWavesPerEU: 62
; Occupancy: 4
; WaveLimiterHint : 0
; COMPUTE_PGM_RSRC2:SCRATCH_EN: 0
; COMPUTE_PGM_RSRC2:USER_SGPR: 6
; COMPUTE_PGM_RSRC2:TRAP_HANDLER: 0
; COMPUTE_PGM_RSRC2:TGID_X_EN: 1
; COMPUTE_PGM_RSRC2:TGID_Y_EN: 0
; COMPUTE_PGM_RSRC2:TGID_Z_EN: 0
; COMPUTE_PGM_RSRC2:TIDIG_COMP_CNT: 0
	.section	.text._ZN9rocsparseL19gpsv_strided_gatherILj256E21rocsparse_complex_numIdEEEviiiPKT0_PS3_,"axG",@progbits,_ZN9rocsparseL19gpsv_strided_gatherILj256E21rocsparse_complex_numIdEEEviiiPKT0_PS3_,comdat
	.globl	_ZN9rocsparseL19gpsv_strided_gatherILj256E21rocsparse_complex_numIdEEEviiiPKT0_PS3_ ; -- Begin function _ZN9rocsparseL19gpsv_strided_gatherILj256E21rocsparse_complex_numIdEEEviiiPKT0_PS3_
	.p2align	8
	.type	_ZN9rocsparseL19gpsv_strided_gatherILj256E21rocsparse_complex_numIdEEEviiiPKT0_PS3_,@function
_ZN9rocsparseL19gpsv_strided_gatherILj256E21rocsparse_complex_numIdEEEviiiPKT0_PS3_: ; @_ZN9rocsparseL19gpsv_strided_gatherILj256E21rocsparse_complex_numIdEEEviiiPKT0_PS3_
; %bb.0:
	s_load_dword s7, s[4:5], 0x2c
	s_load_dwordx4 s[0:3], s[4:5], 0x0
	s_waitcnt lgkmcnt(0)
	s_and_b32 s3, s7, 0xffff
	s_mul_i32 s6, s6, s3
	s_cmp_gt_i32 s0, 0
	v_add_u32_e32 v0, s6, v0
	v_cmp_gt_i32_e32 vcc, s1, v0
	s_cselect_b64 s[6:7], -1, 0
	s_and_b64 s[6:7], vcc, s[6:7]
	s_and_saveexec_b64 s[8:9], s[6:7]
	s_cbranch_execz .LBB9_3
; %bb.1:
	s_load_dwordx4 s[4:7], s[4:5], 0x10
	v_mov_b32_e32 v2, v0
	s_waitcnt lgkmcnt(0)
	v_mov_b32_e32 v4, s5
	v_mov_b32_e32 v5, s7
.LBB9_2:                                ; =>This Inner Loop Header: Depth=1
	v_ashrrev_i32_e32 v1, 31, v0
	v_lshlrev_b64 v[6:7], 4, v[0:1]
	v_ashrrev_i32_e32 v3, 31, v2
	v_add_co_u32_e32 v6, vcc, s4, v6
	v_addc_co_u32_e32 v7, vcc, v4, v7, vcc
	global_load_dwordx4 v[6:9], v[6:7], off
	v_lshlrev_b64 v[10:11], 4, v[2:3]
	s_add_i32 s0, s0, -1
	v_add_co_u32_e32 v10, vcc, s6, v10
	v_add_u32_e32 v2, s1, v2
	s_cmp_lg_u32 s0, 0
	v_addc_co_u32_e32 v11, vcc, v5, v11, vcc
	v_add_u32_e32 v0, s2, v0
	s_waitcnt vmcnt(0)
	global_store_dwordx4 v[10:11], v[6:9], off
	s_cbranch_scc1 .LBB9_2
.LBB9_3:
	s_endpgm
	.section	.rodata,"a",@progbits
	.p2align	6, 0x0
	.amdhsa_kernel _ZN9rocsparseL19gpsv_strided_gatherILj256E21rocsparse_complex_numIdEEEviiiPKT0_PS3_
		.amdhsa_group_segment_fixed_size 0
		.amdhsa_private_segment_fixed_size 0
		.amdhsa_kernarg_size 288
		.amdhsa_user_sgpr_count 6
		.amdhsa_user_sgpr_private_segment_buffer 1
		.amdhsa_user_sgpr_dispatch_ptr 0
		.amdhsa_user_sgpr_queue_ptr 0
		.amdhsa_user_sgpr_kernarg_segment_ptr 1
		.amdhsa_user_sgpr_dispatch_id 0
		.amdhsa_user_sgpr_flat_scratch_init 0
		.amdhsa_user_sgpr_private_segment_size 0
		.amdhsa_uses_dynamic_stack 0
		.amdhsa_system_sgpr_private_segment_wavefront_offset 0
		.amdhsa_system_sgpr_workgroup_id_x 1
		.amdhsa_system_sgpr_workgroup_id_y 0
		.amdhsa_system_sgpr_workgroup_id_z 0
		.amdhsa_system_sgpr_workgroup_info 0
		.amdhsa_system_vgpr_workitem_id 0
		.amdhsa_next_free_vgpr 12
		.amdhsa_next_free_sgpr 10
		.amdhsa_reserve_vcc 1
		.amdhsa_reserve_flat_scratch 0
		.amdhsa_float_round_mode_32 0
		.amdhsa_float_round_mode_16_64 0
		.amdhsa_float_denorm_mode_32 3
		.amdhsa_float_denorm_mode_16_64 3
		.amdhsa_dx10_clamp 1
		.amdhsa_ieee_mode 1
		.amdhsa_fp16_overflow 0
		.amdhsa_exception_fp_ieee_invalid_op 0
		.amdhsa_exception_fp_denorm_src 0
		.amdhsa_exception_fp_ieee_div_zero 0
		.amdhsa_exception_fp_ieee_overflow 0
		.amdhsa_exception_fp_ieee_underflow 0
		.amdhsa_exception_fp_ieee_inexact 0
		.amdhsa_exception_int_div_zero 0
	.end_amdhsa_kernel
	.section	.text._ZN9rocsparseL19gpsv_strided_gatherILj256E21rocsparse_complex_numIdEEEviiiPKT0_PS3_,"axG",@progbits,_ZN9rocsparseL19gpsv_strided_gatherILj256E21rocsparse_complex_numIdEEEviiiPKT0_PS3_,comdat
.Lfunc_end9:
	.size	_ZN9rocsparseL19gpsv_strided_gatherILj256E21rocsparse_complex_numIdEEEviiiPKT0_PS3_, .Lfunc_end9-_ZN9rocsparseL19gpsv_strided_gatherILj256E21rocsparse_complex_numIdEEEviiiPKT0_PS3_
                                        ; -- End function
	.set _ZN9rocsparseL19gpsv_strided_gatherILj256E21rocsparse_complex_numIdEEEviiiPKT0_PS3_.num_vgpr, 12
	.set _ZN9rocsparseL19gpsv_strided_gatherILj256E21rocsparse_complex_numIdEEEviiiPKT0_PS3_.num_agpr, 0
	.set _ZN9rocsparseL19gpsv_strided_gatherILj256E21rocsparse_complex_numIdEEEviiiPKT0_PS3_.numbered_sgpr, 10
	.set _ZN9rocsparseL19gpsv_strided_gatherILj256E21rocsparse_complex_numIdEEEviiiPKT0_PS3_.num_named_barrier, 0
	.set _ZN9rocsparseL19gpsv_strided_gatherILj256E21rocsparse_complex_numIdEEEviiiPKT0_PS3_.private_seg_size, 0
	.set _ZN9rocsparseL19gpsv_strided_gatherILj256E21rocsparse_complex_numIdEEEviiiPKT0_PS3_.uses_vcc, 1
	.set _ZN9rocsparseL19gpsv_strided_gatherILj256E21rocsparse_complex_numIdEEEviiiPKT0_PS3_.uses_flat_scratch, 0
	.set _ZN9rocsparseL19gpsv_strided_gatherILj256E21rocsparse_complex_numIdEEEviiiPKT0_PS3_.has_dyn_sized_stack, 0
	.set _ZN9rocsparseL19gpsv_strided_gatherILj256E21rocsparse_complex_numIdEEEviiiPKT0_PS3_.has_recursion, 0
	.set _ZN9rocsparseL19gpsv_strided_gatherILj256E21rocsparse_complex_numIdEEEviiiPKT0_PS3_.has_indirect_call, 0
	.section	.AMDGPU.csdata,"",@progbits
; Kernel info:
; codeLenInByte = 168
; TotalNumSgprs: 14
; NumVgprs: 12
; ScratchSize: 0
; MemoryBound: 0
; FloatMode: 240
; IeeeMode: 1
; LDSByteSize: 0 bytes/workgroup (compile time only)
; SGPRBlocks: 1
; VGPRBlocks: 2
; NumSGPRsForWavesPerEU: 14
; NumVGPRsForWavesPerEU: 12
; Occupancy: 10
; WaveLimiterHint : 0
; COMPUTE_PGM_RSRC2:SCRATCH_EN: 0
; COMPUTE_PGM_RSRC2:USER_SGPR: 6
; COMPUTE_PGM_RSRC2:TRAP_HANDLER: 0
; COMPUTE_PGM_RSRC2:TGID_X_EN: 1
; COMPUTE_PGM_RSRC2:TGID_Y_EN: 0
; COMPUTE_PGM_RSRC2:TGID_Z_EN: 0
; COMPUTE_PGM_RSRC2:TIDIG_COMP_CNT: 0
	.section	.text._ZN9rocsparseL44gpsv_interleaved_batch_householder_qr_kernelILj256E21rocsparse_complex_numIdEEEviiiPT0_S4_S4_S4_S4_S4_S4_S4_S4_,"axG",@progbits,_ZN9rocsparseL44gpsv_interleaved_batch_householder_qr_kernelILj256E21rocsparse_complex_numIdEEEviiiPT0_S4_S4_S4_S4_S4_S4_S4_S4_,comdat
	.globl	_ZN9rocsparseL44gpsv_interleaved_batch_householder_qr_kernelILj256E21rocsparse_complex_numIdEEEviiiPT0_S4_S4_S4_S4_S4_S4_S4_S4_ ; -- Begin function _ZN9rocsparseL44gpsv_interleaved_batch_householder_qr_kernelILj256E21rocsparse_complex_numIdEEEviiiPT0_S4_S4_S4_S4_S4_S4_S4_S4_
	.p2align	8
	.type	_ZN9rocsparseL44gpsv_interleaved_batch_householder_qr_kernelILj256E21rocsparse_complex_numIdEEEviiiPT0_S4_S4_S4_S4_S4_S4_S4_S4_,@function
_ZN9rocsparseL44gpsv_interleaved_batch_householder_qr_kernelILj256E21rocsparse_complex_numIdEEEviiiPT0_S4_S4_S4_S4_S4_S4_S4_S4_: ; @_ZN9rocsparseL44gpsv_interleaved_batch_householder_qr_kernelILj256E21rocsparse_complex_numIdEEEviiiPT0_S4_S4_S4_S4_S4_S4_S4_S4_
; %bb.0:
	s_load_dword s0, s[4:5], 0x64
	s_load_dwordx4 s[8:11], s[4:5], 0x0
	s_waitcnt lgkmcnt(0)
	s_and_b32 s0, s0, 0xffff
	s_mul_i32 s11, s6, s0
	v_add_u32_e32 v1, s11, v0
	v_cmp_gt_i32_e32 vcc, s9, v1
	s_and_saveexec_b64 s[0:1], vcc
	s_cbranch_execz .LBB10_32
; %bb.1:
	s_load_dwordx2 s[24:25], s[4:5], 0x50
	s_load_dwordx4 s[12:15], s[4:5], 0x40
	s_load_dwordx4 s[16:19], s[4:5], 0x20
	s_load_dwordx2 s[26:27], s[4:5], 0x30
	s_add_i32 s33, s8, -1
	s_cmp_lt_i32 s8, 2
	s_cbranch_scc1 .LBB10_19
; %bb.2:
	s_load_dwordx4 s[20:23], s[4:5], 0x10
	s_mov_b32 s28, 0
	s_mov_b32 s30, 0
	v_add_u32_e32 v83, s9, v0
	v_lshl_add_u32 v84, s9, 1, v0
	v_add_u32_e32 v85, s10, v0
	v_lshl_add_u32 v86, s10, 1, v0
	s_waitcnt lgkmcnt(0)
	v_mov_b32_e32 v87, s23
	v_mov_b32_e32 v88, s17
	;; [unrolled: 1-line block ×5, first 2 shown]
	s_brev_b32 s29, 8
	v_mov_b32_e32 v92, 0x260
	s_brev_b32 s31, 1
	v_mov_b32_e32 v93, 0x100
	v_mov_b32_e32 v94, 0xffffff80
	;; [unrolled: 1-line block ×3, first 2 shown]
	s_mov_b32 s38, s33
	v_mov_b32_e32 v96, v0
	s_branch .LBB10_4
.LBB10_3:                               ;   in Loop: Header=BB10_4 Depth=1
	s_or_b64 exec, exec, s[36:37]
	s_add_i32 s38, s38, -1
	v_add_u32_e32 v83, s9, v83
	v_add_u32_e32 v84, s9, v84
	;; [unrolled: 1-line block ×5, first 2 shown]
	s_cmp_eq_u32 s38, 0
	v_add_u32_e32 v95, s10, v95
	s_cbranch_scc1 .LBB10_19
.LBB10_4:                               ; =>This Inner Loop Header: Depth=1
	s_waitcnt vmcnt(0)
	v_add_u32_e32 v1, s11, v85
	v_ashrrev_i32_e32 v2, 31, v1
	v_lshlrev_b64 v[1:2], 4, v[1:2]
	s_cmp_lg_u32 s38, 1
	v_add_co_u32_e32 v65, vcc, s22, v1
	v_addc_co_u32_e32 v66, vcc, v87, v2, vcc
	v_add_co_u32_e32 v55, vcc, s16, v1
	v_addc_co_u32_e32 v56, vcc, v88, v2, vcc
	;; [unrolled: 2-line block ×3, first 2 shown]
	v_add_co_u32_e32 v59, vcc, s26, v1
	v_add_u32_e32 v1, s11, v83
	v_addc_co_u32_e32 v60, vcc, v90, v2, vcc
	v_ashrrev_i32_e32 v2, 31, v1
	v_lshlrev_b64 v[49:50], 4, v[1:2]
	v_mov_b32_e32 v1, 0
	v_add_co_u32_e32 v61, vcc, s24, v49
	v_addc_co_u32_e32 v62, vcc, v91, v50, vcc
	global_load_dwordx4 v[37:40], v[65:66], off
	global_load_dwordx4 v[33:36], v[55:56], off
	;; [unrolled: 1-line block ×5, first 2 shown]
	v_mov_b32_e32 v3, 0
	v_mov_b32_e32 v5, 0
	;; [unrolled: 1-line block ×11, first 2 shown]
	s_cselect_b64 s[34:35], -1, 0
	s_cmp_eq_u32 s38, 1
	v_mov_b32_e32 v2, 0
	v_mov_b32_e32 v4, 0
	v_mov_b32_e32 v6, 0
	v_mov_b32_e32 v8, 0
	v_mov_b32_e32 v10, 0
	v_mov_b32_e32 v12, 0
	v_mov_b32_e32 v14, 0
	v_mov_b32_e32 v16, 0
	v_mov_b32_e32 v18, 0
	v_mov_b32_e32 v20, 0
	v_mov_b32_e32 v42, 0
	v_mov_b32_e32 v44, 0
	v_add_u32_e32 v63, s11, v86
	v_add_u32_e32 v53, s11, v84
	s_cbranch_scc1 .LBB10_6
; %bb.5:                                ;   in Loop: Header=BB10_4 Depth=1
	v_ashrrev_i32_e32 v64, 31, v63
	v_lshlrev_b64 v[1:2], 4, v[63:64]
	v_mov_b32_e32 v4, s21
	v_add_co_u32_e32 v3, vcc, s20, v1
	v_addc_co_u32_e32 v4, vcc, v4, v2, vcc
	global_load_dwordx4 v[41:44], v[3:4], off
	v_mov_b32_e32 v4, s23
	v_add_co_u32_e32 v3, vcc, s22, v1
	v_addc_co_u32_e32 v4, vcc, v4, v2, vcc
	global_load_dwordx4 v[17:20], v[3:4], off
	;; [unrolled: 4-line block ×4, first 2 shown]
	v_mov_b32_e32 v3, s27
	v_add_co_u32_e32 v1, vcc, s26, v1
	v_addc_co_u32_e32 v2, vcc, v3, v2, vcc
	v_ashrrev_i32_e32 v54, 31, v53
	global_load_dwordx4 v[5:8], v[1:2], off
	v_lshlrev_b64 v[1:2], 4, v[53:54]
	v_mov_b32_e32 v3, s25
	v_add_co_u32_e32 v1, vcc, s24, v1
	v_addc_co_u32_e32 v2, vcc, v3, v2, vcc
	global_load_dwordx4 v[1:4], v[1:2], off
.LBB10_6:                               ;   in Loop: Header=BB10_4 Depth=1
	s_waitcnt vmcnt(5)
	v_mul_f64 v[45:46], v[43:44], -v[43:44]
	v_mul_f64 v[47:48], v[41:42], v[43:44]
	v_fma_f64 v[45:46], v[41:42], v[41:42], v[45:46]
	v_fma_f64 v[47:48], v[43:44], v[41:42], v[47:48]
	s_waitcnt vmcnt(4)
	v_fma_f64 v[45:46], v[37:38], v[37:38], v[45:46]
	v_fma_f64 v[47:48], v[39:40], v[37:38], v[47:48]
	v_fma_f64 v[73:74], -v[39:40], v[39:40], v[45:46]
	v_fma_f64 v[75:76], v[37:38], v[39:40], v[47:48]
	v_cmp_neq_f64_e32 vcc, 0, v[73:74]
	v_cmp_neq_f64_e64 s[0:1], 0, v[75:76]
	s_or_b64 s[0:1], vcc, s[0:1]
	s_and_saveexec_b64 s[36:37], s[0:1]
	s_cbranch_execz .LBB10_3
; %bb.7:                                ;   in Loop: Header=BB10_4 Depth=1
	v_add_u32_e32 v45, s11, v95
	v_ashrrev_i32_e32 v46, 31, v45
	v_lshlrev_b64 v[69:70], 4, v[45:46]
	v_mov_b32_e32 v45, s17
	v_add_co_u32_e32 v67, vcc, s16, v69
	v_addc_co_u32_e32 v68, vcc, v45, v70, vcc
	global_load_dwordx4 v[45:48], v[67:68], off
                                        ; implicit-def: $vgpr79_vgpr80
	s_waitcnt vmcnt(0)
	v_fma_f64 v[51:52], v[45:46], v[45:46], v[73:74]
	v_fma_f64 v[71:72], v[47:48], v[45:46], v[75:76]
	v_fma_f64 v[51:52], -v[47:48], v[47:48], v[51:52]
	v_fma_f64 v[81:82], v[45:46], v[47:48], v[71:72]
	v_cmp_gt_f64_e32 vcc, 0, v[51:52]
	v_cmp_gt_f64_e64 s[0:1], 0, v[81:82]
	v_xor_b32_e32 v54, 0x80000000, v52
	v_xor_b32_e32 v64, 0x80000000, v82
	v_mov_b32_e32 v71, v51
	v_mov_b32_e32 v77, v81
	v_cndmask_b32_e32 v72, v52, v54, vcc
	v_cndmask_b32_e64 v78, v82, v64, s[0:1]
	v_cmp_ngt_f64_e32 vcc, v[71:72], v[77:78]
	s_and_saveexec_b64 s[2:3], vcc
	s_xor_b64 s[2:3], exec, s[2:3]
	s_cbranch_execz .LBB10_11
; %bb.8:                                ;   in Loop: Header=BB10_4 Depth=1
	v_cmp_neq_f64_e32 vcc, 0, v[81:82]
	v_mov_b32_e32 v79, 0
	v_mov_b32_e32 v80, 0
	s_and_saveexec_b64 s[6:7], vcc
	s_cbranch_execz .LBB10_10
; %bb.9:                                ;   in Loop: Header=BB10_4 Depth=1
	v_div_scale_f64 v[79:80], s[40:41], v[77:78], v[77:78], v[71:72]
	v_rcp_f64_e32 v[81:82], v[79:80]
	v_fma_f64 v[97:98], -v[79:80], v[81:82], 1.0
	v_fma_f64 v[81:82], v[81:82], v[97:98], v[81:82]
	v_div_scale_f64 v[97:98], vcc, v[71:72], v[77:78], v[71:72]
	v_fma_f64 v[99:100], -v[79:80], v[81:82], 1.0
	v_fma_f64 v[81:82], v[81:82], v[99:100], v[81:82]
	v_mul_f64 v[99:100], v[97:98], v[81:82]
	v_fma_f64 v[79:80], -v[79:80], v[99:100], v[97:98]
	v_div_fmas_f64 v[79:80], v[79:80], v[81:82], v[99:100]
	v_div_fixup_f64 v[71:72], v[79:80], v[77:78], v[71:72]
	v_fma_f64 v[71:72], v[71:72], v[71:72], 1.0
	v_cmp_gt_f64_e32 vcc, s[28:29], v[71:72]
	v_cndmask_b32_e32 v54, 0, v93, vcc
	v_ldexp_f64 v[71:72], v[71:72], v54
	v_cndmask_b32_e32 v54, 0, v94, vcc
	v_rsq_f64_e32 v[79:80], v[71:72]
	v_cmp_class_f64_e32 vcc, v[71:72], v92
	v_mul_f64 v[81:82], v[71:72], v[79:80]
	v_mul_f64 v[79:80], v[79:80], 0.5
	v_fma_f64 v[97:98], -v[79:80], v[81:82], 0.5
	v_fma_f64 v[81:82], v[81:82], v[97:98], v[81:82]
	v_fma_f64 v[79:80], v[79:80], v[97:98], v[79:80]
	v_fma_f64 v[97:98], -v[81:82], v[81:82], v[71:72]
	v_fma_f64 v[81:82], v[97:98], v[79:80], v[81:82]
	v_fma_f64 v[97:98], -v[81:82], v[81:82], v[71:72]
	v_fma_f64 v[79:80], v[97:98], v[79:80], v[81:82]
	v_ldexp_f64 v[79:80], v[79:80], v54
	v_cndmask_b32_e32 v72, v80, v72, vcc
	v_cndmask_b32_e32 v71, v79, v71, vcc
	v_mul_f64 v[79:80], v[77:78], v[71:72]
.LBB10_10:                              ;   in Loop: Header=BB10_4 Depth=1
	s_or_b64 exec, exec, s[6:7]
                                        ; implicit-def: $vgpr71_vgpr72
                                        ; implicit-def: $vgpr77_vgpr78
.LBB10_11:                              ;   in Loop: Header=BB10_4 Depth=1
	s_andn2_saveexec_b64 s[2:3], s[2:3]
	s_cbranch_execz .LBB10_13
; %bb.12:                               ;   in Loop: Header=BB10_4 Depth=1
	v_div_scale_f64 v[79:80], s[6:7], v[71:72], v[71:72], v[77:78]
	v_rcp_f64_e32 v[81:82], v[79:80]
	v_fma_f64 v[97:98], -v[79:80], v[81:82], 1.0
	v_fma_f64 v[81:82], v[81:82], v[97:98], v[81:82]
	v_div_scale_f64 v[97:98], vcc, v[77:78], v[71:72], v[77:78]
	v_fma_f64 v[99:100], -v[79:80], v[81:82], 1.0
	v_fma_f64 v[81:82], v[81:82], v[99:100], v[81:82]
	v_mul_f64 v[99:100], v[97:98], v[81:82]
	v_fma_f64 v[79:80], -v[79:80], v[99:100], v[97:98]
	v_div_fmas_f64 v[79:80], v[79:80], v[81:82], v[99:100]
	v_div_fixup_f64 v[77:78], v[79:80], v[71:72], v[77:78]
	v_fma_f64 v[77:78], v[77:78], v[77:78], 1.0
	v_cmp_gt_f64_e32 vcc, s[28:29], v[77:78]
	v_cndmask_b32_e32 v54, 0, v93, vcc
	v_ldexp_f64 v[77:78], v[77:78], v54
	v_cndmask_b32_e32 v54, 0, v94, vcc
	v_rsq_f64_e32 v[79:80], v[77:78]
	v_cmp_class_f64_e32 vcc, v[77:78], v92
	v_mul_f64 v[81:82], v[77:78], v[79:80]
	v_mul_f64 v[79:80], v[79:80], 0.5
	v_fma_f64 v[97:98], -v[79:80], v[81:82], 0.5
	v_fma_f64 v[81:82], v[81:82], v[97:98], v[81:82]
	v_fma_f64 v[79:80], v[79:80], v[97:98], v[79:80]
	v_fma_f64 v[97:98], -v[81:82], v[81:82], v[77:78]
	v_fma_f64 v[81:82], v[97:98], v[79:80], v[81:82]
	v_fma_f64 v[97:98], -v[81:82], v[81:82], v[77:78]
	v_fma_f64 v[79:80], v[97:98], v[79:80], v[81:82]
	v_ldexp_f64 v[79:80], v[79:80], v54
	v_cndmask_b32_e32 v78, v80, v78, vcc
	v_cndmask_b32_e32 v77, v79, v77, vcc
	v_mul_f64 v[79:80], v[71:72], v[77:78]
.LBB10_13:                              ;   in Loop: Header=BB10_4 Depth=1
	s_or_b64 exec, exec, s[2:3]
	v_add_f64 v[71:72], v[51:52], v[79:80]
	v_add_f64 v[51:52], v[79:80], -v[51:52]
	v_cmp_nlt_f64_e64 s[6:7], 0, v[45:46]
	v_mul_f64 v[71:72], v[71:72], 0.5
	v_mul_f64 v[51:52], v[51:52], 0.5
	v_cmp_gt_f64_e32 vcc, s[28:29], v[71:72]
	v_cmp_gt_f64_e64 s[2:3], s[28:29], v[51:52]
	v_cndmask_b32_e32 v54, 0, v93, vcc
	v_ldexp_f64 v[71:72], v[71:72], v54
	v_cndmask_b32_e64 v54, 0, v93, s[2:3]
	v_ldexp_f64 v[51:52], v[51:52], v54
	v_cndmask_b32_e64 v64, 0, v94, s[2:3]
	v_cndmask_b32_e32 v54, 0, v94, vcc
	v_rsq_f64_e32 v[77:78], v[71:72]
	v_cmp_class_f64_e32 vcc, v[71:72], v92
	v_rsq_f64_e32 v[79:80], v[51:52]
	v_cmp_class_f64_e64 s[2:3], v[51:52], v92
	v_mul_f64 v[81:82], v[71:72], v[77:78]
	v_mul_f64 v[77:78], v[77:78], 0.5
	v_mul_f64 v[97:98], v[51:52], v[79:80]
	v_mul_f64 v[79:80], v[79:80], 0.5
	v_fma_f64 v[99:100], -v[77:78], v[81:82], 0.5
	v_fma_f64 v[101:102], -v[79:80], v[97:98], 0.5
	v_fma_f64 v[81:82], v[81:82], v[99:100], v[81:82]
	v_fma_f64 v[77:78], v[77:78], v[99:100], v[77:78]
	;; [unrolled: 1-line block ×4, first 2 shown]
	v_fma_f64 v[99:100], -v[81:82], v[81:82], v[71:72]
	v_fma_f64 v[101:102], -v[97:98], v[97:98], v[51:52]
	v_fma_f64 v[81:82], v[99:100], v[77:78], v[81:82]
	v_fma_f64 v[97:98], v[101:102], v[79:80], v[97:98]
	v_fma_f64 v[99:100], -v[81:82], v[81:82], v[71:72]
	v_fma_f64 v[101:102], -v[97:98], v[97:98], v[51:52]
	v_fma_f64 v[77:78], v[99:100], v[77:78], v[81:82]
	v_fma_f64 v[79:80], v[101:102], v[79:80], v[97:98]
	v_ldexp_f64 v[77:78], v[77:78], v54
	v_ldexp_f64 v[79:80], v[79:80], v64
	v_cndmask_b32_e32 v72, v78, v72, vcc
	v_cndmask_b32_e32 v71, v77, v71, vcc
	v_cndmask_b32_e64 v79, v79, v51, s[2:3]
	v_cndmask_b32_e64 v51, v80, v52, s[2:3]
	v_xor_b32_e32 v52, 0x80000000, v51
	v_cndmask_b32_e64 v80, v51, v52, s[0:1]
                                        ; implicit-def: $vgpr77_vgpr78
                                        ; implicit-def: $vgpr51_vgpr52
	s_and_saveexec_b64 s[0:1], s[6:7]
	s_xor_b64 s[0:1], exec, s[0:1]
	s_cbranch_execz .LBB10_15
; %bb.14:                               ;   in Loop: Header=BB10_4 Depth=1
	v_add_f64 v[51:52], v[45:46], -v[71:72]
	v_add_f64 v[77:78], v[47:48], -v[79:80]
                                        ; implicit-def: $vgpr71_vgpr72
                                        ; implicit-def: $vgpr79_vgpr80
.LBB10_15:                              ;   in Loop: Header=BB10_4 Depth=1
	s_andn2_saveexec_b64 s[0:1], s[0:1]
	s_cbranch_execz .LBB10_17
; %bb.16:                               ;   in Loop: Header=BB10_4 Depth=1
	v_add_f64 v[51:52], v[45:46], v[71:72]
	v_add_f64 v[77:78], v[47:48], v[79:80]
.LBB10_17:                              ;   in Loop: Header=BB10_4 Depth=1
	s_or_b64 exec, exec, s[0:1]
	v_mul_f64 v[71:72], v[77:78], v[77:78]
	v_mul_f64 v[81:82], v[77:78], -v[77:78]
	v_mov_b32_e32 v54, s13
	v_mov_b32_e32 v64, s13
	v_mul_f64 v[111:112], v[39:40], v[77:78]
	v_mul_f64 v[113:114], v[77:78], -v[37:38]
	v_mul_f64 v[131:132], v[43:44], v[77:78]
	v_mov_b32_e32 v144, s25
	v_fma_f64 v[109:110], v[51:52], v[51:52], v[71:72]
	v_mul_f64 v[71:72], v[51:52], v[77:78]
	v_fma_f64 v[121:122], v[51:52], v[51:52], v[81:82]
	v_div_scale_f64 v[101:102], s[0:1], v[109:110], v[109:110], 1.0
	v_fma_f64 v[71:72], v[77:78], v[51:52], v[71:72]
	v_add_f64 v[123:124], v[73:74], v[121:122]
	v_div_scale_f64 v[103:104], vcc, 1.0, v[109:110], 1.0
	v_mul_f64 v[77:78], v[77:78], -v[41:42]
	v_add_f64 v[75:76], v[75:76], v[71:72]
	v_mul_f64 v[145:146], v[71:72], s[30:31]
	v_add_f64 v[71:72], v[71:72], v[71:72]
	v_rcp_f64_e32 v[79:80], v[101:102]
	v_mul_f64 v[73:74], v[75:76], v[75:76]
	v_fma_f64 v[71:72], v[121:122], 0, v[71:72]
	v_fma_f64 v[125:126], v[123:124], v[123:124], v[73:74]
	v_add_u32_e32 v73, s11, v96
	v_ashrrev_i32_e32 v74, 31, v73
	v_lshlrev_b64 v[117:118], 4, v[73:74]
	v_fma_f64 v[97:98], -v[101:102], v[79:80], 1.0
	v_div_scale_f64 v[127:128], s[0:1], v[125:126], v[125:126], 1.0
	v_add_co_u32_e64 v129, s[0:1], s12, v117
	v_addc_co_u32_e64 v130, s[0:1], v54, v118, s[0:1]
	v_fma_f64 v[79:80], v[79:80], v[97:98], v[79:80]
	v_add_co_u32_e64 v73, s[0:1], s12, v49
	v_addc_co_u32_e64 v74, s[0:1], v64, v50, s[0:1]
	v_mov_b32_e32 v64, s19
	v_mov_b32_e32 v54, s15
	global_load_dwordx4 v[97:100], v[73:74], off
	v_fma_f64 v[81:82], -v[101:102], v[79:80], 1.0
	v_rcp_f64_e32 v[115:116], v[127:128]
	v_fma_f64 v[105:106], v[79:80], v[81:82], v[79:80]
	global_load_dwordx4 v[79:82], v[129:130], off
	v_mul_f64 v[107:108], v[103:104], v[105:106]
	v_fma_f64 v[119:120], -v[127:128], v[115:116], 1.0
	v_fma_f64 v[49:50], -v[101:102], v[107:108], v[103:104]
	v_mov_b32_e32 v101, s27
	v_fma_f64 v[141:142], v[115:116], v[119:120], v[115:116]
	v_div_fmas_f64 v[49:50], v[49:50], v[105:106], v[107:108]
	v_add_co_u32_e32 v133, vcc, s18, v69
	v_addc_co_u32_e32 v134, vcc, v64, v70, vcc
	v_add_co_u32_e32 v135, vcc, s26, v69
	v_addc_co_u32_e32 v136, vcc, v101, v70, vcc
	v_fma_f64 v[69:70], v[37:38], v[51:52], v[111:112]
	v_add_co_u32_e32 v139, vcc, s14, v117
	v_addc_co_u32_e32 v140, vcc, v54, v118, vcc
	v_add_co_u32_e32 v143, vcc, s24, v117
	v_div_fixup_f64 v[137:138], v[49:50], v[109:110], 1.0
	v_fma_f64 v[49:50], v[39:40], v[51:52], v[113:114]
	v_addc_co_u32_e32 v144, vcc, v144, v118, vcc
	global_load_dwordx4 v[101:104], v[133:134], off
	global_load_dwordx4 v[105:108], v[135:136], off
	;; [unrolled: 1-line block ×4, first 2 shown]
	v_mul_f64 v[113:114], v[69:70], v[137:138]
	v_mul_f64 v[115:116], v[49:50], v[137:138]
	v_fma_f64 v[49:50], v[41:42], v[51:52], v[131:132]
	v_fma_f64 v[51:52], v[43:44], v[51:52], v[77:78]
	v_div_scale_f64 v[77:78], vcc, 1.0, v[125:126], 1.0
	v_fma_f64 v[131:132], -v[127:128], v[141:142], 1.0
	v_fma_f64 v[69:70], v[115:116], v[113:114], 0
	v_mul_f64 v[49:50], v[49:50], v[137:138]
	v_mul_f64 v[51:52], v[51:52], v[137:138]
	v_fma_f64 v[137:138], v[113:114], v[113:114], 1.0
	global_store_dwordx4 v[65:66], v[113:116], off
	v_fma_f64 v[131:132], v[141:142], v[131:132], v[141:142]
	v_fma_f64 v[69:70], v[113:114], v[115:116], v[69:70]
	v_fma_f64 v[137:138], -v[115:116], v[115:116], v[137:138]
	v_mul_f64 v[141:142], v[77:78], v[131:132]
	v_fma_f64 v[69:70], v[51:52], v[49:50], v[69:70]
	v_fma_f64 v[137:138], v[49:50], v[49:50], v[137:138]
	;; [unrolled: 1-line block ×3, first 2 shown]
	v_fma_f64 v[69:70], -v[127:128], v[141:142], v[77:78]
	v_fma_f64 v[77:78], v[121:122], 2.0, v[145:146]
	v_fma_f64 v[127:128], -v[51:52], v[51:52], v[137:138]
	v_mul_f64 v[137:138], v[147:148], v[147:148]
	v_div_fmas_f64 v[69:70], v[69:70], v[131:132], v[141:142]
	s_waitcnt vmcnt(5)
	v_fma_f64 v[131:132], v[115:116], v[25:26], v[81:82]
	v_fma_f64 v[141:142], v[113:114], v[25:26], v[79:80]
	;; [unrolled: 1-line block ×3, first 2 shown]
	v_mul_f64 v[137:138], v[75:76], -v[77:78]
	v_fma_f64 v[131:132], v[113:114], v[27:28], v[131:132]
	v_fma_f64 v[141:142], -v[115:116], v[27:28], v[141:142]
	v_mul_f64 v[75:76], v[75:76], v[71:72]
	v_div_scale_f64 v[145:146], s[0:1], v[121:122], v[121:122], 1.0
	v_fma_f64 v[71:72], v[71:72], v[123:124], v[137:138]
	v_div_fixup_f64 v[69:70], v[69:70], v[125:126], 1.0
	v_fma_f64 v[125:126], v[51:52], v[9:10], v[131:132]
	v_fma_f64 v[131:132], v[49:50], v[9:10], v[141:142]
	v_fma_f64 v[75:76], v[77:78], v[123:124], v[75:76]
	v_fma_f64 v[137:138], v[113:114], v[37:38], v[45:46]
	v_fma_f64 v[141:142], v[115:116], v[37:38], v[47:48]
	v_mul_f64 v[71:72], v[69:70], v[71:72]
	v_fma_f64 v[77:78], v[49:50], v[11:12], v[125:126]
	v_fma_f64 v[123:124], -v[51:52], v[11:12], v[131:132]
	v_mul_f64 v[131:132], v[69:70], v[75:76]
	v_fma_f64 v[64:65], -v[115:116], v[39:40], v[137:138]
	v_rcp_f64_e32 v[125:126], v[145:146]
	v_fma_f64 v[39:40], v[113:114], v[39:40], v[141:142]
	s_waitcnt vmcnt(4)
	v_fma_f64 v[149:150], v[115:116], v[33:34], v[103:104]
	v_fma_f64 v[151:152], v[113:114], v[33:34], v[101:102]
	v_mul_f64 v[69:70], v[71:72], -v[77:78]
	v_mul_f64 v[75:76], v[71:72], v[123:124]
	s_waitcnt vmcnt(2)
	v_fma_f64 v[155:156], v[113:114], v[97:98], v[109:110]
	v_fma_f64 v[97:98], v[115:116], v[97:98], v[111:112]
	v_fma_f64 v[153:154], v[115:116], v[29:30], v[107:108]
	v_fma_f64 v[39:40], v[51:52], v[41:42], v[39:40]
	v_fma_f64 v[41:42], v[49:50], v[41:42], v[64:65]
	v_fma_f64 v[137:138], -v[115:116], v[35:36], v[151:152]
	v_fma_f64 v[37:38], v[123:124], v[131:132], v[69:70]
	v_fma_f64 v[69:70], v[77:78], v[131:132], v[75:76]
	;; [unrolled: 1-line block ×4, first 2 shown]
	v_fma_f64 v[159:160], -v[145:146], v[125:126], 1.0
	s_waitcnt vmcnt(1)
	v_fma_f64 v[161:162], v[113:114], v[21:22], v[117:118]
	v_fma_f64 v[141:142], v[113:114], v[31:32], v[153:154]
	v_fma_f64 v[157:158], v[115:116], v[21:22], v[119:120]
	v_add_f64 v[75:76], v[79:80], -v[37:38]
	v_add_f64 v[77:78], v[81:82], -v[69:70]
	v_fma_f64 v[81:82], v[113:114], v[35:36], v[149:150]
	v_fma_f64 v[149:150], -v[115:116], v[99:100], v[155:156]
	v_fma_f64 v[125:126], v[125:126], v[159:160], v[125:126]
	v_fma_f64 v[99:100], -v[115:116], v[31:32], v[123:124]
	v_fma_f64 v[151:152], -v[115:116], v[23:24], v[161:162]
	v_fma_f64 v[97:98], v[51:52], v[5:6], v[97:98]
	v_fma_f64 v[39:40], v[49:50], v[43:44], v[39:40]
	global_store_dwordx4 v[129:130], v[75:78], off
	global_load_dwordx4 v[77:80], v[73:74], off
	v_div_scale_f64 v[75:76], vcc, 1.0, v[121:122], 1.0
	v_fma_f64 v[129:130], -v[145:146], v[125:126], 1.0
	v_fma_f64 v[64:65], v[51:52], v[17:18], v[81:82]
	v_fma_f64 v[99:100], v[49:50], v[13:14], v[99:100]
	v_fma_f64 v[41:42], -v[51:52], v[43:44], v[41:42]
	v_fma_f64 v[123:124], v[113:114], v[23:24], v[157:158]
	v_fma_f64 v[97:98], v[49:50], v[7:8], v[97:98]
	v_mul_f64 v[159:160], v[147:148], 0
	v_mul_f64 v[147:148], v[147:148], -2.0
	v_fma_f64 v[81:82], v[125:126], v[129:130], v[125:126]
	v_fma_f64 v[125:126], v[49:50], v[17:18], v[137:138]
	;; [unrolled: 1-line block ×5, first 2 shown]
	v_fma_f64 v[99:100], -v[51:52], v[15:16], v[99:100]
	v_fma_f64 v[141:142], v[49:50], v[1:2], v[151:152]
	v_fma_f64 v[123:124], v[51:52], v[1:2], v[123:124]
	v_mul_f64 v[149:150], v[75:76], v[81:82]
	v_fma_f64 v[64:65], -v[51:52], v[19:20], v[125:126]
	v_mul_f64 v[155:156], v[71:72], -v[97:98]
	v_fma_f64 v[125:126], v[49:50], v[15:16], v[129:130]
	v_fma_f64 v[129:130], -v[51:52], v[7:8], v[137:138]
	v_mul_f64 v[151:152], v[71:72], -v[43:44]
	v_mul_f64 v[153:154], v[71:72], v[99:100]
	v_fma_f64 v[137:138], -v[51:52], v[3:4], v[141:142]
	v_fma_f64 v[75:76], -v[145:146], v[149:150], v[75:76]
	v_mul_f64 v[141:142], v[71:72], -v[39:40]
	v_mul_f64 v[145:146], v[71:72], v[41:42]
	v_fma_f64 v[123:124], v[49:50], v[3:4], v[123:124]
	v_mul_f64 v[157:158], v[71:72], v[129:130]
	v_div_fmas_f64 v[81:82], v[75:76], v[81:82], v[149:150]
	v_mul_f64 v[75:76], v[71:72], v[64:65]
	v_mul_f64 v[149:150], v[71:72], -v[125:126]
	v_fma_f64 v[71:72], v[64:65], v[131:132], v[151:152]
	v_fma_f64 v[65:66], v[125:126], v[131:132], v[153:154]
	v_fma_f64 v[125:126], v[127:128], 0, v[147:148]
	v_fma_f64 v[145:146], v[39:40], v[131:132], v[145:146]
	v_fma_f64 v[39:40], v[129:130], v[131:132], v[155:156]
	v_fma_f64 v[141:142], v[41:42], v[131:132], v[141:142]
	v_fma_f64 v[75:76], v[43:44], v[131:132], v[75:76]
	v_fma_f64 v[43:44], v[99:100], v[131:132], v[149:150]
	v_fma_f64 v[41:42], v[97:98], v[131:132], v[157:158]
	v_add_f64 v[97:98], v[101:102], -v[71:72]
	v_fma_f64 v[33:34], -v[71:72], v[113:114], v[33:34]
	v_add_f64 v[47:48], v[47:48], -v[145:146]
	s_andn2_b64 vcc, exec, s[34:35]
	v_div_fixup_f64 v[81:82], v[81:82], v[121:122], 1.0
	v_fma_f64 v[121:122], v[127:128], 2.0, v[159:160]
	v_add_f64 v[101:102], v[105:106], -v[43:44]
	v_add_f64 v[105:106], v[109:110], -v[39:40]
	v_fma_f64 v[109:110], -v[43:44], v[113:114], v[29:30]
	v_add_f64 v[99:100], v[103:104], -v[75:76]
	v_add_f64 v[103:104], v[107:108], -v[65:66]
	;; [unrolled: 1-line block ×3, first 2 shown]
	v_mul_f64 v[125:126], v[125:126], v[81:82]
	v_mul_f64 v[29:30], v[121:122], v[81:82]
	v_add_f64 v[45:46], v[45:46], -v[141:142]
	v_fma_f64 v[127:128], -v[69:70], v[113:114], v[27:28]
	v_fma_f64 v[35:36], -v[75:76], v[113:114], v[35:36]
	global_store_dwordx4 v[67:68], v[45:48], off
	global_store_dwordx4 v[133:134], v[97:100], off
	;; [unrolled: 1-line block ×3, first 2 shown]
	v_mul_f64 v[81:82], v[125:126], -v[123:124]
	v_mul_f64 v[111:112], v[125:126], v[137:138]
	v_fma_f64 v[125:126], -v[37:38], v[113:114], v[25:26]
	v_fma_f64 v[121:122], -v[65:66], v[113:114], v[31:32]
	;; [unrolled: 1-line block ×3, first 2 shown]
	v_fma_f64 v[27:28], v[137:138], v[29:30], v[81:82]
	v_fma_f64 v[25:26], v[123:124], v[29:30], v[111:112]
	s_waitcnt vmcnt(3)
	v_fma_f64 v[67:68], -v[39:40], v[113:114], v[77:78]
	v_fma_f64 v[79:80], -v[41:42], v[113:114], v[79:80]
	v_fma_f64 v[29:30], v[75:76], v[115:116], v[33:34]
	v_fma_f64 v[33:34], v[65:66], v[115:116], v[109:110]
	v_fma_f64 v[35:36], -v[43:44], v[115:116], v[121:122]
	v_fma_f64 v[81:82], -v[113:114], v[27:28], v[21:22]
	;; [unrolled: 1-line block ×3, first 2 shown]
	v_add_f64 v[45:46], v[117:118], -v[27:28]
	v_add_f64 v[47:48], v[119:120], -v[25:26]
	global_store_dwordx4 v[139:140], v[105:108], off
	global_store_dwordx4 v[143:144], v[45:48], off
	s_nop 0
	v_fma_f64 v[45:46], v[115:116], v[25:26], v[81:82]
	v_fma_f64 v[47:48], -v[113:114], v[25:26], v[97:98]
	v_fma_f64 v[21:22], v[69:70], v[115:116], v[125:126]
	v_fma_f64 v[23:24], -v[37:38], v[115:116], v[127:128]
	;; [unrolled: 2-line block ×3, first 2 shown]
	global_store_dwordx4 v[55:56], v[29:32], off
	global_store_dwordx4 v[57:58], v[33:36], off
	;; [unrolled: 1-line block ×5, first 2 shown]
	s_cbranch_vccnz .LBB10_3
; %bb.18:                               ;   in Loop: Header=BB10_4 Depth=1
	v_fma_f64 v[17:18], -v[71:72], v[49:50], v[17:18]
	v_fma_f64 v[19:20], -v[75:76], v[49:50], v[19:20]
	;; [unrolled: 1-line block ×8, first 2 shown]
	v_fma_f64 v[17:18], v[75:76], v[51:52], v[17:18]
	v_fma_f64 v[19:20], -v[71:72], v[51:52], v[19:20]
	v_ashrrev_i32_e32 v64, 31, v63
	v_lshlrev_b64 v[21:22], 4, v[63:64]
	v_fma_f64 v[13:14], v[65:66], v[51:52], v[13:14]
	v_fma_f64 v[15:16], -v[43:44], v[51:52], v[15:16]
	v_fma_f64 v[1:2], -v[49:50], v[27:28], v[1:2]
	;; [unrolled: 1-line block ×3, first 2 shown]
	v_mov_b32_e32 v24, s21
	v_add_co_u32_e32 v23, vcc, s20, v21
	v_fma_f64 v[9:10], v[69:70], v[51:52], v[9:10]
	v_fma_f64 v[11:12], -v[37:38], v[51:52], v[11:12]
	v_addc_co_u32_e32 v24, vcc, v24, v22, vcc
	global_store_dwordx4 v[23:24], v[49:52], off
	v_mov_b32_e32 v24, s23
	v_add_co_u32_e32 v23, vcc, s22, v21
	v_fma_f64 v[5:6], v[41:42], v[51:52], v[5:6]
	v_fma_f64 v[7:8], -v[39:40], v[51:52], v[7:8]
	v_addc_co_u32_e32 v24, vcc, v24, v22, vcc
	global_store_dwordx4 v[23:24], v[17:20], off
	v_fma_f64 v[1:2], v[51:52], v[25:26], v[1:2]
	v_mov_b32_e32 v18, s17
	v_add_co_u32_e32 v17, vcc, s16, v21
	v_addc_co_u32_e32 v18, vcc, v18, v22, vcc
	global_store_dwordx4 v[17:18], v[13:16], off
	v_fma_f64 v[3:4], -v[49:50], v[25:26], v[3:4]
	v_mov_b32_e32 v14, s19
	v_add_co_u32_e32 v13, vcc, s18, v21
	v_addc_co_u32_e32 v14, vcc, v14, v22, vcc
	global_store_dwordx4 v[13:14], v[9:12], off
	v_ashrrev_i32_e32 v54, 31, v53
	v_mov_b32_e32 v10, s27
	v_add_co_u32_e32 v9, vcc, s26, v21
	v_addc_co_u32_e32 v10, vcc, v10, v22, vcc
	global_store_dwordx4 v[9:10], v[5:8], off
	s_nop 0
	v_lshlrev_b64 v[5:6], 4, v[53:54]
	v_mov_b32_e32 v7, s25
	v_add_co_u32_e32 v5, vcc, s24, v5
	v_addc_co_u32_e32 v6, vcc, v7, v6, vcc
	global_store_dwordx4 v[5:6], v[1:4], off
	s_branch .LBB10_3
.LBB10_19:
	s_cmp_lt_i32 s8, 1
	s_cbranch_scc1 .LBB10_32
; %bb.20:
	s_mul_i32 s2, s9, s33
	s_waitcnt vmcnt(1)
	v_add_u32_e32 v8, s2, v0
	s_add_i32 s2, s8, 3
	s_mul_i32 s2, s10, s2
	v_add_u32_e32 v9, s2, v0
	s_add_i32 s2, s8, 2
	s_mul_i32 s2, s10, s2
	s_load_dwordx2 s[0:1], s[4:5], 0x38
	v_add_u32_e32 v10, s2, v0
	s_add_i32 s2, s8, 1
	s_mul_i32 s2, s10, s2
	v_add_u32_e32 v11, s2, v0
	s_mul_i32 s2, s10, s8
	v_add_u32_e32 v12, s2, v0
	;; [unrolled: 2-line block ×3, first 2 shown]
	s_mov_b32 s4, s8
	s_branch .LBB10_22
.LBB10_21:                              ;   in Loop: Header=BB10_22 Depth=1
	v_lshlrev_b64 v[22:23], 4, v[0:1]
	s_waitcnt lgkmcnt(0)
	v_mov_b32_e32 v1, s17
	v_add_co_u32_e32 v0, vcc, s16, v22
	v_addc_co_u32_e32 v1, vcc, v1, v23, vcc
	global_load_dwordx4 v[14:17], v[0:1], off
	v_mov_b32_e32 v18, s25
	v_add_co_u32_e32 v6, vcc, s24, v6
	v_addc_co_u32_e32 v7, vcc, v18, v7, vcc
	global_load_dwordx4 v[18:21], v[6:7], off
	s_add_i32 s4, s4, -1
	v_subrev_u32_e32 v8, s9, v8
	v_subrev_u32_e32 v9, s10, v9
	;; [unrolled: 1-line block ×5, first 2 shown]
	s_cmp_gt_i32 s4, 0
	v_subrev_u32_e32 v13, s10, v13
	s_waitcnt vmcnt(1)
	v_mul_f64 v[0:1], v[16:17], v[16:17]
	s_waitcnt vmcnt(0)
	v_add_f64 v[2:3], v[20:21], -v[2:3]
	v_add_f64 v[4:5], v[18:19], -v[4:5]
	v_fma_f64 v[0:1], v[14:15], v[14:15], v[0:1]
	v_mul_f64 v[18:19], v[2:3], v[16:17]
	v_mul_f64 v[16:17], v[16:17], -v[4:5]
	v_div_scale_f64 v[6:7], s[2:3], v[0:1], v[0:1], 1.0
	v_fma_f64 v[4:5], v[4:5], v[14:15], v[18:19]
	v_fma_f64 v[2:3], v[2:3], v[14:15], v[16:17]
	v_mov_b32_e32 v14, s1
	v_rcp_f64_e32 v[24:25], v[6:7]
	v_fma_f64 v[26:27], -v[6:7], v[24:25], 1.0
	v_fma_f64 v[24:25], v[24:25], v[26:27], v[24:25]
	v_div_scale_f64 v[26:27], vcc, 1.0, v[0:1], 1.0
	v_fma_f64 v[28:29], -v[6:7], v[24:25], 1.0
	v_fma_f64 v[24:25], v[24:25], v[28:29], v[24:25]
	v_mul_f64 v[28:29], v[26:27], v[24:25]
	v_fma_f64 v[6:7], -v[6:7], v[28:29], v[26:27]
	v_div_fmas_f64 v[6:7], v[6:7], v[24:25], v[28:29]
	v_div_fixup_f64 v[6:7], v[6:7], v[0:1], 1.0
	v_mul_f64 v[0:1], v[4:5], v[6:7]
	v_mul_f64 v[2:3], v[2:3], v[6:7]
	v_add_co_u32_e32 v4, vcc, s0, v22
	v_addc_co_u32_e32 v5, vcc, v14, v23, vcc
	global_store_dwordx4 v[4:5], v[0:3], off
	s_cbranch_scc0 .LBB10_32
.LBB10_22:                              ; =>This Inner Loop Header: Depth=1
	v_add_u32_e32 v0, s11, v13
	s_waitcnt vmcnt(0)
	v_mov_b32_e32 v2, 0
	v_mov_b32_e32 v4, 0
	;; [unrolled: 1-line block ×3, first 2 shown]
	s_cmp_ge_i32 s4, s8
	v_mov_b32_e32 v5, 0
	v_ashrrev_i32_e32 v1, 31, v0
	s_cbranch_scc1 .LBB10_24
; %bb.23:                               ;   in Loop: Header=BB10_22 Depth=1
	v_lshlrev_b64 v[2:3], 4, v[0:1]
	s_waitcnt lgkmcnt(0)
	v_mov_b32_e32 v4, s19
	v_add_co_u32_e32 v6, vcc, s18, v2
	v_add_u32_e32 v2, s11, v12
	v_addc_co_u32_e32 v7, vcc, v4, v3, vcc
	v_ashrrev_i32_e32 v3, 31, v2
	v_lshlrev_b64 v[2:3], 4, v[2:3]
	v_mov_b32_e32 v4, s1
	v_add_co_u32_e32 v18, vcc, s0, v2
	v_addc_co_u32_e32 v19, vcc, v4, v3, vcc
	global_load_dwordx4 v[2:5], v[6:7], off
	global_load_dwordx4 v[14:17], v[18:19], off
	s_waitcnt vmcnt(0)
	v_mul_f64 v[6:7], v[16:17], -v[4:5]
	v_mul_f64 v[16:17], v[16:17], v[2:3]
	v_fma_f64 v[2:3], v[2:3], v[14:15], v[6:7]
	v_fma_f64 v[6:7], v[4:5], v[14:15], v[16:17]
	v_add_f64 v[4:5], v[2:3], 0
	v_add_f64 v[2:3], v[6:7], 0
.LBB10_24:                              ;   in Loop: Header=BB10_22 Depth=1
	s_add_i32 s2, s4, 1
	s_cmp_ge_i32 s2, s8
	s_cbranch_scc1 .LBB10_26
; %bb.25:                               ;   in Loop: Header=BB10_22 Depth=1
	v_lshlrev_b64 v[6:7], 4, v[0:1]
	s_waitcnt lgkmcnt(0)
	v_mov_b32_e32 v14, s27
	v_add_co_u32_e32 v6, vcc, s26, v6
	v_addc_co_u32_e32 v7, vcc, v14, v7, vcc
	v_add_u32_e32 v14, s11, v11
	v_ashrrev_i32_e32 v15, 31, v14
	v_lshlrev_b64 v[14:15], 4, v[14:15]
	v_mov_b32_e32 v16, s1
	v_add_co_u32_e32 v22, vcc, s0, v14
	v_addc_co_u32_e32 v23, vcc, v16, v15, vcc
	global_load_dwordx4 v[14:17], v[6:7], off
	global_load_dwordx4 v[18:21], v[22:23], off
	s_waitcnt vmcnt(0)
	v_mul_f64 v[6:7], v[20:21], -v[16:17]
	v_mul_f64 v[20:21], v[20:21], v[14:15]
	v_fma_f64 v[6:7], v[14:15], v[18:19], v[6:7]
	v_fma_f64 v[14:15], v[16:17], v[18:19], v[20:21]
	v_add_f64 v[4:5], v[4:5], v[6:7]
	v_add_f64 v[2:3], v[2:3], v[14:15]
.LBB10_26:                              ;   in Loop: Header=BB10_22 Depth=1
	s_add_i32 s2, s4, 2
	v_add_u32_e32 v6, s11, v8
	s_cmp_lt_i32 s2, s8
	s_mov_b64 s[2:3], -1
	s_cbranch_scc0 .LBB10_29
; %bb.27:                               ;   in Loop: Header=BB10_22 Depth=1
	s_andn2_b64 vcc, exec, s[2:3]
	s_cbranch_vccz .LBB10_30
.LBB10_28:                              ;   in Loop: Header=BB10_22 Depth=1
	s_add_i32 s2, s4, 3
	v_lshlrev_b64 v[6:7], 4, v[6:7]
	s_cmp_ge_i32 s2, s8
	s_cbranch_scc1 .LBB10_21
	s_branch .LBB10_31
.LBB10_29:                              ;   in Loop: Header=BB10_22 Depth=1
	v_ashrrev_i32_e32 v7, 31, v6
	s_cbranch_execnz .LBB10_28
.LBB10_30:                              ;   in Loop: Header=BB10_22 Depth=1
	v_ashrrev_i32_e32 v7, 31, v6
	v_lshlrev_b64 v[14:15], 4, v[6:7]
	s_waitcnt lgkmcnt(0)
	v_mov_b32_e32 v16, s13
	v_add_co_u32_e32 v22, vcc, s12, v14
	v_add_u32_e32 v14, s11, v10
	v_addc_co_u32_e32 v23, vcc, v16, v15, vcc
	v_ashrrev_i32_e32 v15, 31, v14
	v_lshlrev_b64 v[14:15], 4, v[14:15]
	v_mov_b32_e32 v16, s1
	v_add_co_u32_e32 v24, vcc, s0, v14
	v_addc_co_u32_e32 v25, vcc, v16, v15, vcc
	global_load_dwordx4 v[14:17], v[22:23], off
	global_load_dwordx4 v[18:21], v[24:25], off
	s_waitcnt vmcnt(0)
	v_mul_f64 v[22:23], v[20:21], -v[16:17]
	v_mul_f64 v[20:21], v[20:21], v[14:15]
	v_fma_f64 v[14:15], v[14:15], v[18:19], v[22:23]
	v_fma_f64 v[16:17], v[16:17], v[18:19], v[20:21]
	v_add_f64 v[4:5], v[4:5], v[14:15]
	v_add_f64 v[2:3], v[2:3], v[16:17]
	s_add_i32 s2, s4, 3
	v_lshlrev_b64 v[6:7], 4, v[6:7]
	s_cmp_ge_i32 s2, s8
	s_cbranch_scc1 .LBB10_21
.LBB10_31:                              ;   in Loop: Header=BB10_22 Depth=1
	s_waitcnt lgkmcnt(0)
	v_mov_b32_e32 v14, s15
	v_add_co_u32_e32 v22, vcc, s14, v6
	v_addc_co_u32_e32 v23, vcc, v14, v7, vcc
	v_add_u32_e32 v14, s11, v9
	v_ashrrev_i32_e32 v15, 31, v14
	v_lshlrev_b64 v[14:15], 4, v[14:15]
	v_mov_b32_e32 v16, s1
	v_add_co_u32_e32 v24, vcc, s0, v14
	v_addc_co_u32_e32 v25, vcc, v16, v15, vcc
	global_load_dwordx4 v[14:17], v[22:23], off
	global_load_dwordx4 v[18:21], v[24:25], off
	s_waitcnt vmcnt(0)
	v_mul_f64 v[22:23], v[20:21], -v[16:17]
	v_mul_f64 v[20:21], v[20:21], v[14:15]
	v_fma_f64 v[14:15], v[14:15], v[18:19], v[22:23]
	v_fma_f64 v[16:17], v[16:17], v[18:19], v[20:21]
	v_add_f64 v[4:5], v[4:5], v[14:15]
	v_add_f64 v[2:3], v[2:3], v[16:17]
	s_branch .LBB10_21
.LBB10_32:
	s_endpgm
	.section	.rodata,"a",@progbits
	.p2align	6, 0x0
	.amdhsa_kernel _ZN9rocsparseL44gpsv_interleaved_batch_householder_qr_kernelILj256E21rocsparse_complex_numIdEEEviiiPT0_S4_S4_S4_S4_S4_S4_S4_S4_
		.amdhsa_group_segment_fixed_size 0
		.amdhsa_private_segment_fixed_size 0
		.amdhsa_kernarg_size 344
		.amdhsa_user_sgpr_count 6
		.amdhsa_user_sgpr_private_segment_buffer 1
		.amdhsa_user_sgpr_dispatch_ptr 0
		.amdhsa_user_sgpr_queue_ptr 0
		.amdhsa_user_sgpr_kernarg_segment_ptr 1
		.amdhsa_user_sgpr_dispatch_id 0
		.amdhsa_user_sgpr_flat_scratch_init 0
		.amdhsa_user_sgpr_private_segment_size 0
		.amdhsa_uses_dynamic_stack 0
		.amdhsa_system_sgpr_private_segment_wavefront_offset 0
		.amdhsa_system_sgpr_workgroup_id_x 1
		.amdhsa_system_sgpr_workgroup_id_y 0
		.amdhsa_system_sgpr_workgroup_id_z 0
		.amdhsa_system_sgpr_workgroup_info 0
		.amdhsa_system_vgpr_workitem_id 0
		.amdhsa_next_free_vgpr 163
		.amdhsa_next_free_sgpr 42
		.amdhsa_reserve_vcc 1
		.amdhsa_reserve_flat_scratch 0
		.amdhsa_float_round_mode_32 0
		.amdhsa_float_round_mode_16_64 0
		.amdhsa_float_denorm_mode_32 3
		.amdhsa_float_denorm_mode_16_64 3
		.amdhsa_dx10_clamp 1
		.amdhsa_ieee_mode 1
		.amdhsa_fp16_overflow 0
		.amdhsa_exception_fp_ieee_invalid_op 0
		.amdhsa_exception_fp_denorm_src 0
		.amdhsa_exception_fp_ieee_div_zero 0
		.amdhsa_exception_fp_ieee_overflow 0
		.amdhsa_exception_fp_ieee_underflow 0
		.amdhsa_exception_fp_ieee_inexact 0
		.amdhsa_exception_int_div_zero 0
	.end_amdhsa_kernel
	.section	.text._ZN9rocsparseL44gpsv_interleaved_batch_householder_qr_kernelILj256E21rocsparse_complex_numIdEEEviiiPT0_S4_S4_S4_S4_S4_S4_S4_S4_,"axG",@progbits,_ZN9rocsparseL44gpsv_interleaved_batch_householder_qr_kernelILj256E21rocsparse_complex_numIdEEEviiiPT0_S4_S4_S4_S4_S4_S4_S4_S4_,comdat
.Lfunc_end10:
	.size	_ZN9rocsparseL44gpsv_interleaved_batch_householder_qr_kernelILj256E21rocsparse_complex_numIdEEEviiiPT0_S4_S4_S4_S4_S4_S4_S4_S4_, .Lfunc_end10-_ZN9rocsparseL44gpsv_interleaved_batch_householder_qr_kernelILj256E21rocsparse_complex_numIdEEEviiiPT0_S4_S4_S4_S4_S4_S4_S4_S4_
                                        ; -- End function
	.set _ZN9rocsparseL44gpsv_interleaved_batch_householder_qr_kernelILj256E21rocsparse_complex_numIdEEEviiiPT0_S4_S4_S4_S4_S4_S4_S4_S4_.num_vgpr, 163
	.set _ZN9rocsparseL44gpsv_interleaved_batch_householder_qr_kernelILj256E21rocsparse_complex_numIdEEEviiiPT0_S4_S4_S4_S4_S4_S4_S4_S4_.num_agpr, 0
	.set _ZN9rocsparseL44gpsv_interleaved_batch_householder_qr_kernelILj256E21rocsparse_complex_numIdEEEviiiPT0_S4_S4_S4_S4_S4_S4_S4_S4_.numbered_sgpr, 42
	.set _ZN9rocsparseL44gpsv_interleaved_batch_householder_qr_kernelILj256E21rocsparse_complex_numIdEEEviiiPT0_S4_S4_S4_S4_S4_S4_S4_S4_.num_named_barrier, 0
	.set _ZN9rocsparseL44gpsv_interleaved_batch_householder_qr_kernelILj256E21rocsparse_complex_numIdEEEviiiPT0_S4_S4_S4_S4_S4_S4_S4_S4_.private_seg_size, 0
	.set _ZN9rocsparseL44gpsv_interleaved_batch_householder_qr_kernelILj256E21rocsparse_complex_numIdEEEviiiPT0_S4_S4_S4_S4_S4_S4_S4_S4_.uses_vcc, 1
	.set _ZN9rocsparseL44gpsv_interleaved_batch_householder_qr_kernelILj256E21rocsparse_complex_numIdEEEviiiPT0_S4_S4_S4_S4_S4_S4_S4_S4_.uses_flat_scratch, 0
	.set _ZN9rocsparseL44gpsv_interleaved_batch_householder_qr_kernelILj256E21rocsparse_complex_numIdEEEviiiPT0_S4_S4_S4_S4_S4_S4_S4_S4_.has_dyn_sized_stack, 0
	.set _ZN9rocsparseL44gpsv_interleaved_batch_householder_qr_kernelILj256E21rocsparse_complex_numIdEEEviiiPT0_S4_S4_S4_S4_S4_S4_S4_S4_.has_recursion, 0
	.set _ZN9rocsparseL44gpsv_interleaved_batch_householder_qr_kernelILj256E21rocsparse_complex_numIdEEEviiiPT0_S4_S4_S4_S4_S4_S4_S4_S4_.has_indirect_call, 0
	.section	.AMDGPU.csdata,"",@progbits
; Kernel info:
; codeLenInByte = 4740
; TotalNumSgprs: 46
; NumVgprs: 163
; ScratchSize: 0
; MemoryBound: 1
; FloatMode: 240
; IeeeMode: 1
; LDSByteSize: 0 bytes/workgroup (compile time only)
; SGPRBlocks: 5
; VGPRBlocks: 40
; NumSGPRsForWavesPerEU: 46
; NumVGPRsForWavesPerEU: 163
; Occupancy: 1
; WaveLimiterHint : 0
; COMPUTE_PGM_RSRC2:SCRATCH_EN: 0
; COMPUTE_PGM_RSRC2:USER_SGPR: 6
; COMPUTE_PGM_RSRC2:TRAP_HANDLER: 0
; COMPUTE_PGM_RSRC2:TGID_X_EN: 1
; COMPUTE_PGM_RSRC2:TGID_Y_EN: 0
; COMPUTE_PGM_RSRC2:TGID_Z_EN: 0
; COMPUTE_PGM_RSRC2:TIDIG_COMP_CNT: 0
	.section	.text._ZN9rocsparseL39gpsv_interleaved_batch_givens_qr_kernelILj128E21rocsparse_complex_numIdEEEviiiPT0_S4_S4_S4_S4_S4_S4_S4_,"axG",@progbits,_ZN9rocsparseL39gpsv_interleaved_batch_givens_qr_kernelILj128E21rocsparse_complex_numIdEEEviiiPT0_S4_S4_S4_S4_S4_S4_S4_,comdat
	.globl	_ZN9rocsparseL39gpsv_interleaved_batch_givens_qr_kernelILj128E21rocsparse_complex_numIdEEEviiiPT0_S4_S4_S4_S4_S4_S4_S4_ ; -- Begin function _ZN9rocsparseL39gpsv_interleaved_batch_givens_qr_kernelILj128E21rocsparse_complex_numIdEEEviiiPT0_S4_S4_S4_S4_S4_S4_S4_
	.p2align	8
	.type	_ZN9rocsparseL39gpsv_interleaved_batch_givens_qr_kernelILj128E21rocsparse_complex_numIdEEEviiiPT0_S4_S4_S4_S4_S4_S4_S4_,@function
_ZN9rocsparseL39gpsv_interleaved_batch_givens_qr_kernelILj128E21rocsparse_complex_numIdEEEviiiPT0_S4_S4_S4_S4_S4_S4_S4_: ; @_ZN9rocsparseL39gpsv_interleaved_batch_givens_qr_kernelILj128E21rocsparse_complex_numIdEEEviiiPT0_S4_S4_S4_S4_S4_S4_S4_
; %bb.0:
	s_load_dwordx4 s[16:19], s[4:5], 0x0
	s_waitcnt lgkmcnt(0)
	s_lshl_b32 s19, s6, 7
	v_or_b32_e32 v70, s19, v0
	v_cmp_gt_i32_e32 vcc, s17, v70
	s_and_saveexec_b64 s[0:1], vcc
	s_cbranch_execz .LBB11_25
; %bb.1:
	s_load_dwordx2 s[6:7], s[4:5], 0x48
	s_load_dwordx4 s[20:23], s[4:5], 0x38
	s_load_dwordx8 s[8:15], s[4:5], 0x18
	s_add_i32 s28, s16, -2
	s_cmp_lt_i32 s16, 3
	s_cbranch_scc1 .LBB11_16
; %bb.2:
	s_load_dwordx2 s[4:5], s[4:5], 0x10
	s_mov_b32 s24, 0
	s_mov_b32 s26, 0
	s_lshl_b32 s29, s18, 1
	s_waitcnt lgkmcnt(0)
	v_mov_b32_e32 v71, s9
	v_mov_b32_e32 v72, s11
	;; [unrolled: 1-line block ×5, first 2 shown]
	s_brev_b32 s25, 8
	v_mov_b32_e32 v76, 0x260
	s_brev_b32 s27, 1
	v_mov_b32_e32 v77, 0x100
	v_mov_b32_e32 v78, 0xffffff80
	v_mov_b32_e32 v48, v70
	s_mov_b32 s5, s28
	v_mov_b32_e32 v54, v70
	s_branch .LBB11_4
.LBB11_3:                               ;   in Loop: Header=BB11_4 Depth=1
	s_or_b64 exec, exec, s[0:1]
	v_cmp_gt_f64_e32 vcc, s[24:25], v[66:67]
	s_add_i32 s5, s5, -1
	s_cmp_eq_u32 s5, 0
	v_cndmask_b32_e32 v38, 0, v77, vcc
	v_ldexp_f64 v[50:51], v[66:67], v38
	v_cndmask_b32_e32 v38, 0, v78, vcc
	v_rsq_f64_e32 v[52:53], v[50:51]
	v_cmp_class_f64_e32 vcc, v[50:51], v76
	v_mul_f64 v[66:67], v[50:51], v[52:53]
	v_mul_f64 v[52:53], v[52:53], 0.5
	v_fma_f64 v[68:69], -v[52:53], v[66:67], 0.5
	v_fma_f64 v[66:67], v[66:67], v[68:69], v[66:67]
	v_fma_f64 v[52:53], v[52:53], v[68:69], v[52:53]
	v_fma_f64 v[79:80], -v[66:67], v[66:67], v[50:51]
	v_fma_f64 v[66:67], v[79:80], v[52:53], v[66:67]
	v_fma_f64 v[68:69], -v[66:67], v[66:67], v[50:51]
	v_fma_f64 v[52:53], v[68:69], v[52:53], v[66:67]
	v_ldexp_f64 v[52:53], v[52:53], v38
	v_cndmask_b32_e32 v51, v53, v51, vcc
	v_cndmask_b32_e32 v50, v52, v50, vcc
	v_fma_f64 v[52:53], v[50:51], v[50:51], 0
	v_div_scale_f64 v[66:67], s[0:1], v[52:53], v[52:53], 1.0
	v_rcp_f64_e32 v[68:69], v[66:67]
	v_fma_f64 v[79:80], -v[66:67], v[68:69], 1.0
	v_fma_f64 v[68:69], v[68:69], v[79:80], v[68:69]
	v_fma_f64 v[79:80], -v[66:67], v[68:69], 1.0
	v_fma_f64 v[68:69], v[68:69], v[79:80], v[68:69]
	v_div_scale_f64 v[79:80], vcc, 1.0, v[52:53], 1.0
	v_mul_f64 v[81:82], v[79:80], v[68:69]
	v_fma_f64 v[66:67], -v[66:67], v[81:82], v[79:80]
	v_mul_f64 v[79:80], v[19:20], s[26:27]
	s_nop 0
	v_div_fmas_f64 v[66:67], v[66:67], v[68:69], v[81:82]
	v_mul_f64 v[68:69], v[21:22], s[26:27]
	v_mul_f64 v[81:82], v[17:18], s[26:27]
	v_fma_f64 v[79:80], v[17:18], v[50:51], v[79:80]
	v_fma_f64 v[68:69], -v[23:24], v[50:51], v[68:69]
	v_div_fixup_f64 v[52:53], v[66:67], v[52:53], 1.0
	v_mul_f64 v[66:67], v[23:24], s[26:27]
	v_mul_f64 v[68:69], v[68:69], v[52:53]
	v_fma_f64 v[66:67], v[21:22], v[50:51], v[66:67]
	v_fma_f64 v[50:51], -v[19:20], v[50:51], v[81:82]
	v_mul_f64 v[79:80], v[79:80], v[52:53]
	v_mul_f64 v[66:67], v[66:67], v[52:53]
	;; [unrolled: 1-line block ×3, first 2 shown]
	v_mul_f64 v[52:53], v[50:51], -v[19:20]
	v_fma_f64 v[52:53], v[17:18], v[79:80], v[52:53]
	v_mul_f64 v[17:18], v[17:18], v[50:51]
	v_fma_f64 v[19:20], v[19:20], v[79:80], v[17:18]
	v_fma_f64 v[17:18], v[21:22], v[66:67], v[52:53]
	;; [unrolled: 1-line block ×3, first 2 shown]
	v_fma_f64 v[17:18], -v[23:24], v[68:69], v[17:18]
	v_fma_f64 v[19:20], v[21:22], v[68:69], v[19:20]
	global_store_dwordx4 v[62:63], v[17:20], off
	s_nop 0
	v_mul_f64 v[17:18], v[15:16], v[68:69]
	v_mul_f64 v[19:20], v[13:14], -v[68:69]
	v_fma_f64 v[17:18], v[13:14], v[66:67], v[17:18]
	v_fma_f64 v[19:20], v[15:16], v[66:67], v[19:20]
	s_waitcnt vmcnt(4)
	v_fma_f64 v[17:18], -v[33:34], v[79:80], v[17:18]
	v_fma_f64 v[19:20], -v[35:36], v[79:80], v[19:20]
	v_fma_f64 v[17:18], v[35:36], -v[50:51], v[17:18]
	v_fma_f64 v[19:20], v[33:34], v[50:51], v[19:20]
	global_store_dwordx4 v[46:47], v[17:20], off
	s_nop 0
	v_mul_f64 v[17:18], v[50:51], -v[15:16]
	v_fma_f64 v[17:18], v[13:14], v[79:80], v[17:18]
	v_mul_f64 v[13:14], v[13:14], v[50:51]
	v_fma_f64 v[15:16], v[15:16], v[79:80], v[13:14]
	v_fma_f64 v[13:14], v[33:34], v[66:67], v[17:18]
	;; [unrolled: 1-line block ×3, first 2 shown]
	v_fma_f64 v[13:14], -v[35:36], v[68:69], v[13:14]
	v_fma_f64 v[15:16], v[33:34], v[68:69], v[15:16]
	global_store_dwordx4 v[60:61], v[13:16], off
	s_nop 0
	v_mul_f64 v[13:14], v[11:12], v[68:69]
	v_mul_f64 v[15:16], v[9:10], -v[68:69]
	v_fma_f64 v[13:14], v[9:10], v[66:67], v[13:14]
	v_fma_f64 v[15:16], v[11:12], v[66:67], v[15:16]
	s_waitcnt vmcnt(5)
	v_fma_f64 v[13:14], -v[29:30], v[79:80], v[13:14]
	v_fma_f64 v[15:16], -v[31:32], v[79:80], v[15:16]
	v_fma_f64 v[13:14], v[31:32], -v[50:51], v[13:14]
	v_fma_f64 v[15:16], v[29:30], v[50:51], v[15:16]
	global_store_dwordx4 v[44:45], v[13:16], off
	s_nop 0
	v_mul_f64 v[13:14], v[50:51], -v[11:12]
	v_fma_f64 v[13:14], v[9:10], v[79:80], v[13:14]
	v_mul_f64 v[9:10], v[9:10], v[50:51]
	v_fma_f64 v[11:12], v[11:12], v[79:80], v[9:10]
	v_fma_f64 v[9:10], v[29:30], v[66:67], v[13:14]
	;; [unrolled: 1-line block ×3, first 2 shown]
	v_fma_f64 v[9:10], -v[31:32], v[68:69], v[9:10]
	v_fma_f64 v[11:12], v[29:30], v[68:69], v[11:12]
	global_store_dwordx4 v[58:59], v[9:12], off
	s_nop 0
	v_mul_f64 v[9:10], v[7:8], v[68:69]
	v_mul_f64 v[11:12], v[5:6], -v[68:69]
	v_fma_f64 v[9:10], v[5:6], v[66:67], v[9:10]
	v_fma_f64 v[11:12], v[7:8], v[66:67], v[11:12]
	v_fma_f64 v[9:10], -v[25:26], v[79:80], v[9:10]
	v_fma_f64 v[11:12], -v[27:28], v[79:80], v[11:12]
	v_fma_f64 v[9:10], v[27:28], -v[50:51], v[9:10]
	v_fma_f64 v[11:12], v[25:26], v[50:51], v[11:12]
	global_store_dwordx4 v[42:43], v[9:12], off
	s_nop 0
	v_mul_f64 v[9:10], v[50:51], -v[7:8]
	v_fma_f64 v[9:10], v[5:6], v[79:80], v[9:10]
	v_mul_f64 v[5:6], v[5:6], v[50:51]
	v_fma_f64 v[7:8], v[7:8], v[79:80], v[5:6]
	v_fma_f64 v[5:6], v[25:26], v[66:67], v[9:10]
	;; [unrolled: 1-line block ×3, first 2 shown]
	v_fma_f64 v[5:6], -v[27:28], v[68:69], v[5:6]
	v_fma_f64 v[7:8], v[25:26], v[68:69], v[7:8]
	global_store_dwordx4 v[56:57], v[5:8], off
	s_nop 0
	v_mul_f64 v[5:6], v[3:4], v[68:69]
	v_mul_f64 v[7:8], v[1:2], -v[68:69]
	v_fma_f64 v[5:6], v[1:2], v[66:67], v[5:6]
	v_fma_f64 v[7:8], v[3:4], v[66:67], v[7:8]
	global_store_dwordx4 v[64:65], v[5:8], off
	s_nop 0
	v_mul_f64 v[5:6], v[50:51], -v[3:4]
	v_fma_f64 v[5:6], v[1:2], v[79:80], v[5:6]
	v_mul_f64 v[1:2], v[1:2], v[50:51]
	v_fma_f64 v[7:8], v[3:4], v[79:80], v[1:2]
	v_add_co_u32_e32 v1, vcc, s22, v54
	v_mov_b32_e32 v2, s23
	v_addc_co_u32_e32 v2, vcc, v2, v55, vcc
	v_add_co_u32_e32 v13, vcc, s6, v48
	global_store_dwordx4 v[1:2], v[5:8], off
	v_mov_b32_e32 v1, s7
	v_addc_co_u32_e32 v14, vcc, v1, v49, vcc
	global_load_dwordx4 v[1:4], v[13:14], off
	global_load_dwordx4 v[5:8], v[39:40], off
	v_mov_b32_e32 v48, v41
	v_mov_b32_e32 v54, v37
	s_waitcnt vmcnt(0)
	v_mul_f64 v[9:10], v[50:51], -v[7:8]
	v_mul_f64 v[11:12], v[50:51], v[5:6]
	v_fma_f64 v[9:10], v[5:6], v[79:80], v[9:10]
	v_fma_f64 v[11:12], v[7:8], v[79:80], v[11:12]
	;; [unrolled: 1-line block ×4, first 2 shown]
	v_fma_f64 v[9:10], -v[3:4], v[68:69], v[9:10]
	v_fma_f64 v[11:12], v[1:2], v[68:69], v[11:12]
	global_store_dwordx4 v[13:14], v[9:12], off
	s_nop 0
	v_mul_f64 v[9:10], v[68:69], v[7:8]
	v_fma_f64 v[9:10], v[5:6], v[66:67], v[9:10]
	v_mul_f64 v[5:6], v[5:6], -v[68:69]
	v_fma_f64 v[7:8], v[7:8], v[66:67], v[5:6]
	v_fma_f64 v[5:6], -v[1:2], v[79:80], v[9:10]
	v_fma_f64 v[5:6], v[3:4], -v[50:51], v[5:6]
	v_fma_f64 v[3:4], -v[3:4], v[79:80], v[7:8]
	v_fma_f64 v[7:8], v[1:2], v[50:51], v[3:4]
	global_store_dwordx4 v[39:40], v[5:8], off
	s_cbranch_scc1 .LBB11_16
.LBB11_4:                               ; =>This Inner Loop Header: Depth=1
	v_add_u32_e32 v1, s29, v48
	v_ashrrev_i32_e32 v2, 31, v1
	v_lshlrev_b64 v[62:63], 4, v[1:2]
	v_add_u32_e32 v41, s18, v48
	v_add_co_u32_e32 v1, vcc, s4, v62
	v_addc_co_u32_e32 v2, vcc, v74, v63, vcc
	global_load_dwordx4 v[5:8], v[1:2], off
	v_ashrrev_i32_e32 v42, 31, v41
	v_lshlrev_b64 v[64:65], 4, v[41:42]
                                        ; implicit-def: $vgpr66_vgpr67
	v_add_co_u32_e32 v50, vcc, s8, v64
	v_addc_co_u32_e32 v51, vcc, v71, v65, vcc
	v_add_co_u32_e32 v52, vcc, s8, v62
	v_addc_co_u32_e32 v53, vcc, v71, v63, vcc
	global_load_dwordx4 v[37:40], v[50:51], off
	global_load_dwordx4 v[13:16], v[52:53], off
	v_add_co_u32_e32 v46, vcc, s10, v64
	v_addc_co_u32_e32 v47, vcc, v72, v65, vcc
	v_add_co_u32_e32 v60, vcc, s10, v62
	v_addc_co_u32_e32 v61, vcc, v72, v63, vcc
	;; [unrolled: 2-line block ×5, first 2 shown]
	v_add_co_u32_e32 v56, vcc, s14, v62
	global_load_dwordx4 v[33:36], v[46:47], off
	global_load_dwordx4 v[9:12], v[60:61], off
	global_load_dwordx4 v[29:32], v[44:45], off
	global_load_dwordx4 v[21:24], v[58:59], off
	v_addc_co_u32_e32 v57, vcc, v75, v63, vcc
	global_load_dwordx4 v[25:28], v[42:43], off
	global_load_dwordx4 v[1:4], v[56:57], off
	s_waitcnt vmcnt(8)
	v_mul_f64 v[17:18], v[5:6], -v[7:8]
	v_mul_f64 v[19:20], v[7:8], v[7:8]
	v_fma_f64 v[17:18], v[7:8], v[5:6], v[17:18]
	v_fma_f64 v[19:20], v[5:6], v[5:6], v[19:20]
	s_waitcnt vmcnt(7)
	v_fma_f64 v[17:18], v[39:40], v[37:38], v[17:18]
	v_fma_f64 v[19:20], v[37:38], v[37:38], v[19:20]
	v_fma_f64 v[68:69], v[37:38], -v[39:40], v[17:18]
	v_fma_f64 v[17:18], v[39:40], v[39:40], v[19:20]
	v_cmp_gt_f64_e32 vcc, 0, v[68:69]
	v_xor_b32_e32 v19, 0x80000000, v69
	v_cndmask_b32_e32 v20, v69, v19, vcc
	v_mov_b32_e32 v19, v68
	v_cmp_ngt_f64_e32 vcc, v[17:18], v[19:20]
	s_and_saveexec_b64 s[0:1], vcc
	s_xor_b64 s[0:1], exec, s[0:1]
	s_cbranch_execz .LBB11_8
; %bb.5:                                ;   in Loop: Header=BB11_4 Depth=1
	v_cmp_neq_f64_e32 vcc, 0, v[68:69]
	v_mov_b32_e32 v66, 0
	v_mov_b32_e32 v67, 0
	s_and_saveexec_b64 s[2:3], vcc
	s_cbranch_execz .LBB11_7
; %bb.6:                                ;   in Loop: Header=BB11_4 Depth=1
	v_div_scale_f64 v[66:67], s[30:31], v[19:20], v[19:20], v[17:18]
	v_rcp_f64_e32 v[68:69], v[66:67]
	v_fma_f64 v[79:80], -v[66:67], v[68:69], 1.0
	v_fma_f64 v[68:69], v[68:69], v[79:80], v[68:69]
	v_div_scale_f64 v[79:80], vcc, v[17:18], v[19:20], v[17:18]
	v_fma_f64 v[81:82], -v[66:67], v[68:69], 1.0
	v_fma_f64 v[68:69], v[68:69], v[81:82], v[68:69]
	v_mul_f64 v[81:82], v[79:80], v[68:69]
	v_fma_f64 v[66:67], -v[66:67], v[81:82], v[79:80]
	v_div_fmas_f64 v[66:67], v[66:67], v[68:69], v[81:82]
	v_div_fixup_f64 v[17:18], v[66:67], v[19:20], v[17:18]
	v_fma_f64 v[17:18], v[17:18], v[17:18], 1.0
	v_cmp_gt_f64_e32 vcc, s[24:25], v[17:18]
	v_cndmask_b32_e32 v49, 0, v77, vcc
	v_ldexp_f64 v[17:18], v[17:18], v49
	v_cndmask_b32_e32 v49, 0, v78, vcc
	v_rsq_f64_e32 v[66:67], v[17:18]
	v_cmp_class_f64_e32 vcc, v[17:18], v76
	v_mul_f64 v[68:69], v[17:18], v[66:67]
	v_mul_f64 v[66:67], v[66:67], 0.5
	v_fma_f64 v[79:80], -v[66:67], v[68:69], 0.5
	v_fma_f64 v[68:69], v[68:69], v[79:80], v[68:69]
	v_fma_f64 v[66:67], v[66:67], v[79:80], v[66:67]
	v_fma_f64 v[79:80], -v[68:69], v[68:69], v[17:18]
	v_fma_f64 v[68:69], v[79:80], v[66:67], v[68:69]
	v_fma_f64 v[79:80], -v[68:69], v[68:69], v[17:18]
	v_fma_f64 v[66:67], v[79:80], v[66:67], v[68:69]
	v_ldexp_f64 v[66:67], v[66:67], v49
	v_cndmask_b32_e32 v18, v67, v18, vcc
	v_cndmask_b32_e32 v17, v66, v17, vcc
	v_mul_f64 v[66:67], v[19:20], v[17:18]
.LBB11_7:                               ;   in Loop: Header=BB11_4 Depth=1
	s_or_b64 exec, exec, s[2:3]
                                        ; implicit-def: $vgpr17_vgpr18
                                        ; implicit-def: $vgpr19_vgpr20
.LBB11_8:                               ;   in Loop: Header=BB11_4 Depth=1
	s_andn2_saveexec_b64 s[0:1], s[0:1]
	s_cbranch_execz .LBB11_10
; %bb.9:                                ;   in Loop: Header=BB11_4 Depth=1
	v_div_scale_f64 v[66:67], s[2:3], v[17:18], v[17:18], v[19:20]
	v_rcp_f64_e32 v[68:69], v[66:67]
	v_fma_f64 v[79:80], -v[66:67], v[68:69], 1.0
	v_fma_f64 v[68:69], v[68:69], v[79:80], v[68:69]
	v_div_scale_f64 v[79:80], vcc, v[19:20], v[17:18], v[19:20]
	v_fma_f64 v[81:82], -v[66:67], v[68:69], 1.0
	v_fma_f64 v[68:69], v[68:69], v[81:82], v[68:69]
	v_mul_f64 v[81:82], v[79:80], v[68:69]
	v_fma_f64 v[66:67], -v[66:67], v[81:82], v[79:80]
	v_div_fmas_f64 v[66:67], v[66:67], v[68:69], v[81:82]
	v_div_fixup_f64 v[19:20], v[66:67], v[17:18], v[19:20]
	v_fma_f64 v[19:20], v[19:20], v[19:20], 1.0
	v_cmp_gt_f64_e32 vcc, s[24:25], v[19:20]
	v_cndmask_b32_e32 v49, 0, v77, vcc
	v_ldexp_f64 v[19:20], v[19:20], v49
	v_cndmask_b32_e32 v49, 0, v78, vcc
	v_rsq_f64_e32 v[66:67], v[19:20]
	v_cmp_class_f64_e32 vcc, v[19:20], v76
	v_mul_f64 v[68:69], v[19:20], v[66:67]
	v_mul_f64 v[66:67], v[66:67], 0.5
	v_fma_f64 v[79:80], -v[66:67], v[68:69], 0.5
	v_fma_f64 v[68:69], v[68:69], v[79:80], v[68:69]
	v_fma_f64 v[66:67], v[66:67], v[79:80], v[66:67]
	v_fma_f64 v[79:80], -v[68:69], v[68:69], v[19:20]
	v_fma_f64 v[68:69], v[79:80], v[66:67], v[68:69]
	v_fma_f64 v[79:80], -v[68:69], v[68:69], v[19:20]
	v_fma_f64 v[66:67], v[79:80], v[66:67], v[68:69]
	v_ldexp_f64 v[66:67], v[66:67], v49
	v_cndmask_b32_e32 v20, v67, v20, vcc
	v_cndmask_b32_e32 v19, v66, v19, vcc
	v_mul_f64 v[66:67], v[17:18], v[19:20]
.LBB11_10:                              ;   in Loop: Header=BB11_4 Depth=1
	s_or_b64 exec, exec, s[0:1]
	v_cmp_gt_f64_e32 vcc, s[24:25], v[66:67]
	v_ashrrev_i32_e32 v55, 31, v54
	v_cndmask_b32_e32 v17, 0, v77, vcc
	v_ldexp_f64 v[17:18], v[66:67], v17
	v_cndmask_b32_e32 v49, 0, v78, vcc
	v_rsq_f64_e32 v[19:20], v[17:18]
	v_cmp_class_f64_e32 vcc, v[17:18], v76
	v_mul_f64 v[66:67], v[17:18], v[19:20]
	v_mul_f64 v[19:20], v[19:20], 0.5
	v_fma_f64 v[68:69], -v[19:20], v[66:67], 0.5
	v_fma_f64 v[66:67], v[66:67], v[68:69], v[66:67]
	v_fma_f64 v[19:20], v[19:20], v[68:69], v[19:20]
	v_fma_f64 v[68:69], -v[66:67], v[66:67], v[17:18]
	v_fma_f64 v[66:67], v[68:69], v[19:20], v[66:67]
	v_fma_f64 v[68:69], -v[66:67], v[66:67], v[17:18]
	v_fma_f64 v[19:20], v[68:69], v[19:20], v[66:67]
	v_ldexp_f64 v[19:20], v[19:20], v49
	v_ashrrev_i32_e32 v49, 31, v48
	v_lshlrev_b64 v[48:49], 4, v[48:49]
	v_cndmask_b32_e32 v18, v20, v18, vcc
	v_cndmask_b32_e32 v17, v19, v17, vcc
	v_fma_f64 v[19:20], v[17:18], v[17:18], 0
	v_div_scale_f64 v[66:67], s[0:1], v[19:20], v[19:20], 1.0
	v_rcp_f64_e32 v[68:69], v[66:67]
	v_fma_f64 v[79:80], -v[66:67], v[68:69], 1.0
	v_fma_f64 v[68:69], v[68:69], v[79:80], v[68:69]
	v_fma_f64 v[79:80], -v[66:67], v[68:69], 1.0
	v_fma_f64 v[68:69], v[68:69], v[79:80], v[68:69]
	v_div_scale_f64 v[79:80], vcc, 1.0, v[19:20], 1.0
	v_mul_f64 v[81:82], v[79:80], v[68:69]
	v_fma_f64 v[66:67], -v[66:67], v[81:82], v[79:80]
	v_mul_f64 v[79:80], v[39:40], s[26:27]
	s_nop 0
	v_div_fmas_f64 v[66:67], v[66:67], v[68:69], v[81:82]
	v_mul_f64 v[68:69], v[37:38], s[26:27]
	v_mul_f64 v[81:82], v[7:8], s[26:27]
	v_fma_f64 v[79:80], v[37:38], v[17:18], v[79:80]
	v_add_co_u32_e32 v91, vcc, s6, v62
	v_fma_f64 v[68:69], -v[39:40], v[17:18], v[68:69]
	v_div_fixup_f64 v[19:20], v[66:67], v[19:20], 1.0
	v_mul_f64 v[66:67], v[5:6], s[26:27]
	v_mul_f64 v[85:86], v[68:69], v[19:20]
	v_fma_f64 v[66:67], -v[7:8], v[17:18], v[66:67]
	v_fma_f64 v[17:18], v[5:6], v[17:18], v[81:82]
	v_mul_f64 v[83:84], v[79:80], v[19:20]
	v_mul_f64 v[89:90], v[66:67], v[19:20]
	;; [unrolled: 1-line block ×3, first 2 shown]
	s_waitcnt vmcnt(0)
	v_mul_f64 v[17:18], v[3:4], v[85:86]
	v_mul_f64 v[19:20], v[1:2], -v[85:86]
	v_fma_f64 v[66:67], v[1:2], v[83:84], v[17:18]
	v_mul_f64 v[17:18], v[89:90], -v[3:4]
	v_fma_f64 v[68:69], v[3:4], v[83:84], v[19:20]
	v_mul_f64 v[19:20], v[1:2], v[89:90]
	v_fma_f64 v[1:2], v[1:2], v[87:88], v[17:18]
	v_mul_f64 v[17:18], v[89:90], -v[7:8]
	v_fma_f64 v[3:4], v[3:4], v[87:88], v[19:20]
	v_fma_f64 v[17:18], v[5:6], v[87:88], v[17:18]
	v_mul_f64 v[5:6], v[5:6], v[89:90]
	v_fma_f64 v[5:6], v[7:8], v[87:88], v[5:6]
	v_fma_f64 v[7:8], v[37:38], v[83:84], v[17:18]
	v_fma_f64 v[5:6], v[39:40], v[83:84], v[5:6]
	v_fma_f64 v[17:18], -v[39:40], v[85:86], v[7:8]
	v_mul_f64 v[7:8], v[13:14], v[89:90]
	v_fma_f64 v[19:20], v[37:38], v[85:86], v[5:6]
	v_mul_f64 v[5:6], v[89:90], -v[15:16]
	v_mul_f64 v[37:38], v[15:16], v[85:86]
	v_fma_f64 v[7:8], v[15:16], v[87:88], v[7:8]
	v_fma_f64 v[5:6], v[13:14], v[87:88], v[5:6]
	;; [unrolled: 1-line block ×3, first 2 shown]
	v_mul_f64 v[13:14], v[13:14], -v[85:86]
	v_fma_f64 v[7:8], v[35:36], v[83:84], v[7:8]
	v_fma_f64 v[5:6], v[33:34], v[83:84], v[5:6]
	;; [unrolled: 1-line block ×4, first 2 shown]
	v_fma_f64 v[13:14], -v[35:36], v[85:86], v[5:6]
	v_fma_f64 v[5:6], -v[33:34], v[87:88], v[37:38]
	;; [unrolled: 1-line block ×3, first 2 shown]
	v_mov_b32_e32 v40, s7
	v_addc_co_u32_e32 v92, vcc, v40, v63, vcc
	v_add_co_u32_e32 v39, vcc, s6, v64
	v_addc_co_u32_e32 v40, vcc, v40, v65, vcc
	v_fma_f64 v[79:80], v[35:36], -v[89:90], v[5:6]
	v_fma_f64 v[81:82], v[33:34], v[89:90], v[7:8]
	v_mul_f64 v[5:6], v[89:90], -v[11:12]
	v_mul_f64 v[7:8], v[9:10], v[89:90]
	v_mul_f64 v[33:34], v[11:12], v[85:86]
	v_fma_f64 v[5:6], v[9:10], v[87:88], v[5:6]
	v_fma_f64 v[7:8], v[11:12], v[87:88], v[7:8]
	;; [unrolled: 1-line block ×3, first 2 shown]
	v_mul_f64 v[9:10], v[9:10], -v[85:86]
	v_fma_f64 v[5:6], v[29:30], v[83:84], v[5:6]
	v_fma_f64 v[7:8], v[31:32], v[83:84], v[7:8]
	;; [unrolled: 1-line block ×3, first 2 shown]
	v_fma_f64 v[9:10], -v[31:32], v[85:86], v[5:6]
	v_fma_f64 v[11:12], v[29:30], v[85:86], v[7:8]
	v_fma_f64 v[5:6], -v[29:30], v[87:88], v[33:34]
	v_fma_f64 v[7:8], -v[31:32], v[87:88], v[35:36]
	v_fma_f64 v[31:32], v[31:32], -v[89:90], v[5:6]
	v_fma_f64 v[33:34], v[29:30], v[89:90], v[7:8]
	v_mul_f64 v[5:6], v[89:90], -v[23:24]
	v_mul_f64 v[29:30], v[23:24], v[85:86]
	v_mul_f64 v[7:8], v[21:22], v[89:90]
	v_fma_f64 v[5:6], v[21:22], v[87:88], v[5:6]
	v_fma_f64 v[29:30], v[21:22], v[83:84], v[29:30]
	v_mul_f64 v[21:22], v[21:22], -v[85:86]
	v_fma_f64 v[7:8], v[23:24], v[87:88], v[7:8]
	v_fma_f64 v[5:6], v[25:26], v[83:84], v[5:6]
	;; [unrolled: 1-line block ×3, first 2 shown]
	v_fma_f64 v[23:24], -v[25:26], v[87:88], v[29:30]
	v_fma_f64 v[7:8], v[27:28], v[83:84], v[7:8]
	v_fma_f64 v[5:6], -v[27:28], v[85:86], v[5:6]
	v_fma_f64 v[21:22], -v[27:28], v[87:88], v[21:22]
	v_fma_f64 v[27:28], v[27:28], -v[89:90], v[23:24]
	v_fma_f64 v[7:8], v[25:26], v[85:86], v[7:8]
	v_fma_f64 v[29:30], v[25:26], v[89:90], v[21:22]
	global_load_dwordx4 v[21:24], v[91:92], off
	s_waitcnt vmcnt(0)
	v_mul_f64 v[25:26], v[89:90], -v[23:24]
	v_mul_f64 v[37:38], v[85:86], v[23:24]
	v_mul_f64 v[35:36], v[89:90], v[21:22]
	v_fma_f64 v[25:26], v[21:22], v[87:88], v[25:26]
	v_fma_f64 v[37:38], v[21:22], v[83:84], v[37:38]
	v_mul_f64 v[21:22], v[21:22], -v[85:86]
	v_fma_f64 v[35:36], v[23:24], v[87:88], v[35:36]
	v_fma_f64 v[62:63], v[23:24], v[83:84], v[21:22]
	global_load_dwordx4 v[21:24], v[39:40], off
	s_nop 0
	global_store_dwordx4 v[46:47], v[13:16], off
	global_store_dwordx4 v[60:61], v[31:34], off
	s_waitcnt vmcnt(2)
	v_fma_f64 v[25:26], v[21:22], v[83:84], v[25:26]
	v_fma_f64 v[35:36], v[23:24], v[83:84], v[35:36]
	v_fma_f64 v[83:84], -v[23:24], v[85:86], v[25:26]
	v_fma_f64 v[85:86], v[21:22], v[85:86], v[35:36]
	v_fma_f64 v[25:26], -v[21:22], v[87:88], v[37:38]
	v_fma_f64 v[35:36], -v[23:24], v[87:88], v[62:63]
	v_add_co_u32_e32 v62, vcc, s10, v48
	v_add_u32_e32 v37, s17, v54
	v_lshlrev_b64 v[54:55], 4, v[54:55]
	v_ashrrev_i32_e32 v38, 31, v37
	v_fma_f64 v[87:88], v[23:24], -v[89:90], v[25:26]
	v_fma_f64 v[89:90], v[21:22], v[89:90], v[35:36]
	v_mov_b32_e32 v21, s11
	v_addc_co_u32_e32 v63, vcc, v21, v49, vcc
	global_load_dwordx4 v[21:24], v[62:63], off
	s_nop 0
	global_store_dwordx4 v[44:45], v[9:12], off
	global_store_dwordx4 v[58:59], v[27:30], off
	v_lshlrev_b64 v[25:26], 4, v[37:38]
	v_mov_b32_e32 v27, s21
	v_mov_b32_e32 v28, s13
	;; [unrolled: 1-line block ×3, first 2 shown]
	global_store_dwordx4 v[42:43], v[5:8], off
	global_store_dwordx4 v[56:57], v[66:69], off
	v_add_co_u32_e32 v60, vcc, s12, v48
	v_add_co_u32_e64 v58, s[0:1], s14, v48
	v_add_co_u32_e64 v56, s[2:3], s20, v54
	v_addc_co_u32_e32 v61, vcc, v28, v49, vcc
	v_addc_co_u32_e64 v59, vcc, v29, v49, s[0:1]
	v_addc_co_u32_e64 v57, vcc, v27, v55, s[2:3]
	v_add_co_u32_e32 v64, vcc, s20, v25
	v_addc_co_u32_e32 v65, vcc, v27, v26, vcc
	global_store_dwordx4 v[64:65], v[1:4], off
	global_load_dwordx4 v[25:28], v[56:57], off
	s_nop 0
	global_store_dwordx4 v[50:51], v[17:20], off
	global_store_dwordx4 v[52:53], v[79:82], off
	global_load_dwordx4 v[33:36], v[60:61], off
	global_load_dwordx4 v[29:32], v[58:59], off
	v_mul_f64 v[50:51], v[17:18], -v[19:20]
	v_mul_f64 v[52:53], v[19:20], v[19:20]
	global_store_dwordx4 v[39:40], v[83:86], off
	global_store_dwordx4 v[91:92], v[87:90], off
                                        ; implicit-def: $vgpr66_vgpr67
	v_fma_f64 v[50:51], v[19:20], v[17:18], v[50:51]
	v_fma_f64 v[52:53], v[17:18], v[17:18], v[52:53]
	s_waitcnt vmcnt(12)
	v_fma_f64 v[50:51], v[23:24], v[21:22], v[50:51]
	v_fma_f64 v[68:69], v[21:22], -v[23:24], v[50:51]
	v_fma_f64 v[50:51], v[21:22], v[21:22], v[52:53]
	v_cmp_gt_f64_e32 vcc, 0, v[68:69]
	v_fma_f64 v[50:51], v[23:24], v[23:24], v[50:51]
	v_xor_b32_e32 v38, 0x80000000, v69
	v_mov_b32_e32 v52, v68
	v_cndmask_b32_e32 v53, v69, v38, vcc
	v_cmp_ngt_f64_e32 vcc, v[50:51], v[52:53]
	s_and_saveexec_b64 s[0:1], vcc
	s_xor_b64 s[0:1], exec, s[0:1]
	s_cbranch_execz .LBB11_14
; %bb.11:                               ;   in Loop: Header=BB11_4 Depth=1
	v_cmp_neq_f64_e32 vcc, 0, v[68:69]
	v_mov_b32_e32 v66, 0
	v_mov_b32_e32 v67, 0
	s_and_saveexec_b64 s[2:3], vcc
	s_cbranch_execz .LBB11_13
; %bb.12:                               ;   in Loop: Header=BB11_4 Depth=1
	v_div_scale_f64 v[66:67], s[30:31], v[52:53], v[52:53], v[50:51]
	v_rcp_f64_e32 v[68:69], v[66:67]
	v_fma_f64 v[79:80], -v[66:67], v[68:69], 1.0
	v_fma_f64 v[68:69], v[68:69], v[79:80], v[68:69]
	v_div_scale_f64 v[79:80], vcc, v[50:51], v[52:53], v[50:51]
	v_fma_f64 v[81:82], -v[66:67], v[68:69], 1.0
	v_fma_f64 v[68:69], v[68:69], v[81:82], v[68:69]
	v_mul_f64 v[81:82], v[79:80], v[68:69]
	v_fma_f64 v[66:67], -v[66:67], v[81:82], v[79:80]
	v_div_fmas_f64 v[66:67], v[66:67], v[68:69], v[81:82]
	v_div_fixup_f64 v[50:51], v[66:67], v[52:53], v[50:51]
	v_fma_f64 v[50:51], v[50:51], v[50:51], 1.0
	v_cmp_gt_f64_e32 vcc, s[24:25], v[50:51]
	v_cndmask_b32_e32 v38, 0, v77, vcc
	v_ldexp_f64 v[50:51], v[50:51], v38
	v_cndmask_b32_e32 v38, 0, v78, vcc
	v_rsq_f64_e32 v[66:67], v[50:51]
	v_cmp_class_f64_e32 vcc, v[50:51], v76
	v_mul_f64 v[68:69], v[50:51], v[66:67]
	v_mul_f64 v[66:67], v[66:67], 0.5
	v_fma_f64 v[79:80], -v[66:67], v[68:69], 0.5
	v_fma_f64 v[68:69], v[68:69], v[79:80], v[68:69]
	v_fma_f64 v[66:67], v[66:67], v[79:80], v[66:67]
	v_fma_f64 v[79:80], -v[68:69], v[68:69], v[50:51]
	v_fma_f64 v[68:69], v[79:80], v[66:67], v[68:69]
	v_fma_f64 v[79:80], -v[68:69], v[68:69], v[50:51]
	v_fma_f64 v[66:67], v[79:80], v[66:67], v[68:69]
	v_ldexp_f64 v[66:67], v[66:67], v38
	v_cndmask_b32_e32 v51, v67, v51, vcc
	v_cndmask_b32_e32 v50, v66, v50, vcc
	v_mul_f64 v[66:67], v[52:53], v[50:51]
.LBB11_13:                              ;   in Loop: Header=BB11_4 Depth=1
	s_or_b64 exec, exec, s[2:3]
                                        ; implicit-def: $vgpr50_vgpr51
                                        ; implicit-def: $vgpr52_vgpr53
.LBB11_14:                              ;   in Loop: Header=BB11_4 Depth=1
	s_andn2_saveexec_b64 s[0:1], s[0:1]
	s_cbranch_execz .LBB11_3
; %bb.15:                               ;   in Loop: Header=BB11_4 Depth=1
	v_div_scale_f64 v[66:67], s[2:3], v[50:51], v[50:51], v[52:53]
	v_rcp_f64_e32 v[68:69], v[66:67]
	v_fma_f64 v[79:80], -v[66:67], v[68:69], 1.0
	v_fma_f64 v[68:69], v[68:69], v[79:80], v[68:69]
	v_div_scale_f64 v[79:80], vcc, v[52:53], v[50:51], v[52:53]
	v_fma_f64 v[81:82], -v[66:67], v[68:69], 1.0
	v_fma_f64 v[68:69], v[68:69], v[81:82], v[68:69]
	v_mul_f64 v[81:82], v[79:80], v[68:69]
	v_fma_f64 v[66:67], -v[66:67], v[81:82], v[79:80]
	v_div_fmas_f64 v[66:67], v[66:67], v[68:69], v[81:82]
	v_div_fixup_f64 v[52:53], v[66:67], v[50:51], v[52:53]
	v_fma_f64 v[52:53], v[52:53], v[52:53], 1.0
	v_cmp_gt_f64_e32 vcc, s[24:25], v[52:53]
	v_cndmask_b32_e32 v38, 0, v77, vcc
	v_ldexp_f64 v[52:53], v[52:53], v38
	v_cndmask_b32_e32 v38, 0, v78, vcc
	v_rsq_f64_e32 v[66:67], v[52:53]
	v_cmp_class_f64_e32 vcc, v[52:53], v76
	v_mul_f64 v[68:69], v[52:53], v[66:67]
	v_mul_f64 v[66:67], v[66:67], 0.5
	v_fma_f64 v[79:80], -v[66:67], v[68:69], 0.5
	v_fma_f64 v[68:69], v[68:69], v[79:80], v[68:69]
	v_fma_f64 v[66:67], v[66:67], v[79:80], v[66:67]
	v_fma_f64 v[79:80], -v[68:69], v[68:69], v[52:53]
	v_fma_f64 v[68:69], v[79:80], v[66:67], v[68:69]
	v_fma_f64 v[79:80], -v[68:69], v[68:69], v[52:53]
	v_fma_f64 v[66:67], v[79:80], v[66:67], v[68:69]
	v_ldexp_f64 v[66:67], v[66:67], v38
	v_cndmask_b32_e32 v53, v67, v53, vcc
	v_cndmask_b32_e32 v52, v66, v52, vcc
	v_mul_f64 v[66:67], v[50:51], v[52:53]
	s_branch .LBB11_3
.LBB11_16:
	s_add_i32 s0, s16, -1
	s_mul_i32 s4, s18, s0
	v_add_u32_e32 v1, s4, v70
	v_ashrrev_i32_e32 v2, 31, v1
	v_lshlrev_b64 v[67:68], 4, v[1:2]
	s_waitcnt lgkmcnt(0)
	v_mov_b32_e32 v2, s9
	v_add_co_u32_e32 v1, vcc, s8, v67
	v_addc_co_u32_e32 v2, vcc, v2, v68, vcc
	global_load_dwordx4 v[29:32], v[1:2], off
	s_sub_i32 s5, s4, s18
	v_add_u32_e32 v1, s5, v70
	v_ashrrev_i32_e32 v2, 31, v1
	v_lshlrev_b64 v[61:62], 4, v[1:2]
	v_mov_b32_e32 v1, s11
	v_add_co_u32_e32 v57, vcc, s10, v61
	v_addc_co_u32_e32 v58, vcc, v1, v62, vcc
	v_add_co_u32_e32 v63, vcc, s10, v67
	v_addc_co_u32_e32 v64, vcc, v1, v68, vcc
	global_load_dwordx4 v[33:36], v[57:58], off
	global_load_dwordx4 v[25:28], v[63:64], off
	v_mov_b32_e32 v1, s13
	v_add_co_u32_e32 v51, vcc, s12, v61
	v_addc_co_u32_e32 v52, vcc, v1, v62, vcc
	v_add_co_u32_e32 v53, vcc, s12, v67
	v_addc_co_u32_e32 v54, vcc, v1, v68, vcc
	v_mov_b32_e32 v1, s15
	v_add_co_u32_e32 v45, vcc, s14, v61
	v_addc_co_u32_e32 v46, vcc, v1, v62, vcc
	v_add_co_u32_e32 v47, vcc, s14, v67
	s_mul_i32 s0, s17, s28
	v_addc_co_u32_e32 v48, vcc, v1, v68, vcc
	v_add_u32_e32 v1, s0, v70
	v_ashrrev_i32_e32 v2, 31, v1
	v_lshlrev_b64 v[37:38], 4, v[1:2]
	v_add_u32_e32 v43, s17, v1
	v_mov_b32_e32 v2, s21
	v_add_co_u32_e32 v39, vcc, s20, v37
	v_ashrrev_i32_e32 v44, 31, v43
	v_addc_co_u32_e32 v40, vcc, v2, v38, vcc
	v_lshlrev_b64 v[1:2], 4, v[43:44]
	v_mov_b32_e32 v3, s21
	v_add_co_u32_e32 v41, vcc, s20, v1
	global_load_dwordx4 v[21:24], v[51:52], off
	global_load_dwordx4 v[13:16], v[53:54], off
	v_addc_co_u32_e32 v42, vcc, v3, v2, vcc
	global_load_dwordx4 v[5:8], v[39:40], off
	global_load_dwordx4 v[1:4], v[41:42], off
	;; [unrolled: 1-line block ×4, first 2 shown]
                                        ; implicit-def: $vgpr59_vgpr60
	s_waitcnt vmcnt(8)
	v_mul_f64 v[49:50], v[29:30], -v[31:32]
	v_mul_f64 v[55:56], v[31:32], v[31:32]
	v_fma_f64 v[49:50], v[31:32], v[29:30], v[49:50]
	v_fma_f64 v[55:56], v[29:30], v[29:30], v[55:56]
	s_waitcnt vmcnt(7)
	v_fma_f64 v[49:50], v[35:36], v[33:34], v[49:50]
	v_fma_f64 v[55:56], v[33:34], v[33:34], v[55:56]
	v_fma_f64 v[65:66], v[33:34], -v[35:36], v[49:50]
	v_fma_f64 v[49:50], v[35:36], v[35:36], v[55:56]
	v_cmp_gt_f64_e32 vcc, 0, v[65:66]
	v_xor_b32_e32 v44, 0x80000000, v66
	v_mov_b32_e32 v55, v65
	v_cndmask_b32_e32 v56, v66, v44, vcc
	v_cmp_ngt_f64_e32 vcc, v[49:50], v[55:56]
	s_and_saveexec_b64 s[0:1], vcc
	s_xor_b64 s[0:1], exec, s[0:1]
	s_cbranch_execz .LBB11_20
; %bb.17:
	v_cmp_neq_f64_e32 vcc, 0, v[65:66]
	v_mov_b32_e32 v59, 0
	v_mov_b32_e32 v60, 0
	s_and_saveexec_b64 s[2:3], vcc
	s_cbranch_execz .LBB11_19
; %bb.18:
	v_div_scale_f64 v[59:60], s[8:9], v[55:56], v[55:56], v[49:50]
	s_mov_b32 s8, 0
	s_brev_b32 s9, 8
	v_mov_b32_e32 v44, 0x100
	v_rcp_f64_e32 v[65:66], v[59:60]
	v_fma_f64 v[71:72], -v[59:60], v[65:66], 1.0
	v_fma_f64 v[65:66], v[65:66], v[71:72], v[65:66]
	v_div_scale_f64 v[71:72], vcc, v[49:50], v[55:56], v[49:50]
	v_fma_f64 v[73:74], -v[59:60], v[65:66], 1.0
	v_fma_f64 v[65:66], v[65:66], v[73:74], v[65:66]
	v_mul_f64 v[73:74], v[71:72], v[65:66]
	v_fma_f64 v[59:60], -v[59:60], v[73:74], v[71:72]
	v_div_fmas_f64 v[59:60], v[59:60], v[65:66], v[73:74]
	v_div_fixup_f64 v[49:50], v[59:60], v[55:56], v[49:50]
	v_fma_f64 v[49:50], v[49:50], v[49:50], 1.0
	v_cmp_gt_f64_e32 vcc, s[8:9], v[49:50]
	v_cndmask_b32_e32 v44, 0, v44, vcc
	v_ldexp_f64 v[49:50], v[49:50], v44
	v_mov_b32_e32 v44, 0xffffff80
	v_cndmask_b32_e32 v44, 0, v44, vcc
	v_rsq_f64_e32 v[59:60], v[49:50]
	v_mul_f64 v[65:66], v[49:50], v[59:60]
	v_mul_f64 v[59:60], v[59:60], 0.5
	v_fma_f64 v[71:72], -v[59:60], v[65:66], 0.5
	v_fma_f64 v[65:66], v[65:66], v[71:72], v[65:66]
	v_fma_f64 v[59:60], v[59:60], v[71:72], v[59:60]
	v_fma_f64 v[71:72], -v[65:66], v[65:66], v[49:50]
	v_fma_f64 v[65:66], v[71:72], v[59:60], v[65:66]
	v_fma_f64 v[71:72], -v[65:66], v[65:66], v[49:50]
	v_fma_f64 v[59:60], v[71:72], v[59:60], v[65:66]
	v_mov_b32_e32 v65, 0x260
	v_cmp_class_f64_e32 vcc, v[49:50], v65
	v_ldexp_f64 v[59:60], v[59:60], v44
	v_cndmask_b32_e32 v50, v60, v50, vcc
	v_cndmask_b32_e32 v49, v59, v49, vcc
	v_mul_f64 v[59:60], v[55:56], v[49:50]
.LBB11_19:
	s_or_b64 exec, exec, s[2:3]
                                        ; implicit-def: $vgpr49_vgpr50
                                        ; implicit-def: $vgpr55_vgpr56
.LBB11_20:
	s_andn2_saveexec_b64 s[0:1], s[0:1]
	s_cbranch_execz .LBB11_22
; %bb.21:
	v_div_scale_f64 v[59:60], s[2:3], v[49:50], v[49:50], v[55:56]
	s_mov_b32 s2, 0
	s_brev_b32 s3, 8
	v_mov_b32_e32 v44, 0x100
	v_rcp_f64_e32 v[65:66], v[59:60]
	v_fma_f64 v[71:72], -v[59:60], v[65:66], 1.0
	v_fma_f64 v[65:66], v[65:66], v[71:72], v[65:66]
	v_div_scale_f64 v[71:72], vcc, v[55:56], v[49:50], v[55:56]
	v_fma_f64 v[73:74], -v[59:60], v[65:66], 1.0
	v_fma_f64 v[65:66], v[65:66], v[73:74], v[65:66]
	v_mul_f64 v[73:74], v[71:72], v[65:66]
	v_fma_f64 v[59:60], -v[59:60], v[73:74], v[71:72]
	v_div_fmas_f64 v[59:60], v[59:60], v[65:66], v[73:74]
	v_div_fixup_f64 v[55:56], v[59:60], v[49:50], v[55:56]
	v_fma_f64 v[55:56], v[55:56], v[55:56], 1.0
	v_cmp_gt_f64_e32 vcc, s[2:3], v[55:56]
	v_cndmask_b32_e32 v44, 0, v44, vcc
	v_ldexp_f64 v[55:56], v[55:56], v44
	v_mov_b32_e32 v44, 0xffffff80
	v_cndmask_b32_e32 v44, 0, v44, vcc
	v_rsq_f64_e32 v[59:60], v[55:56]
	v_mul_f64 v[65:66], v[55:56], v[59:60]
	v_mul_f64 v[59:60], v[59:60], 0.5
	v_fma_f64 v[71:72], -v[59:60], v[65:66], 0.5
	v_fma_f64 v[65:66], v[65:66], v[71:72], v[65:66]
	v_fma_f64 v[59:60], v[59:60], v[71:72], v[59:60]
	v_fma_f64 v[71:72], -v[65:66], v[65:66], v[55:56]
	v_fma_f64 v[65:66], v[71:72], v[59:60], v[65:66]
	v_fma_f64 v[71:72], -v[65:66], v[65:66], v[55:56]
	v_fma_f64 v[59:60], v[71:72], v[59:60], v[65:66]
	v_mov_b32_e32 v65, 0x260
	v_cmp_class_f64_e32 vcc, v[55:56], v65
	v_ldexp_f64 v[59:60], v[59:60], v44
	v_cndmask_b32_e32 v56, v60, v56, vcc
	v_cndmask_b32_e32 v55, v59, v55, vcc
	v_mul_f64 v[59:60], v[49:50], v[55:56]
.LBB11_22:
	s_or_b64 exec, exec, s[0:1]
	s_mov_b32 s0, 0
	s_brev_b32 s1, 8
	v_cmp_gt_f64_e32 vcc, s[0:1], v[59:60]
	v_mov_b32_e32 v44, 0x100
	v_mov_b32_e32 v69, s7
	v_cndmask_b32_e32 v44, 0, v44, vcc
	v_ldexp_f64 v[49:50], v[59:60], v44
	v_mov_b32_e32 v44, 0xffffff80
	v_cndmask_b32_e32 v44, 0, v44, vcc
	v_rsq_f64_e32 v[55:56], v[49:50]
	v_mul_f64 v[59:60], v[49:50], v[55:56]
	v_mul_f64 v[55:56], v[55:56], 0.5
	v_fma_f64 v[65:66], -v[55:56], v[59:60], 0.5
	v_fma_f64 v[59:60], v[59:60], v[65:66], v[59:60]
	v_fma_f64 v[55:56], v[55:56], v[65:66], v[55:56]
	v_fma_f64 v[65:66], -v[59:60], v[59:60], v[49:50]
	v_fma_f64 v[59:60], v[65:66], v[55:56], v[59:60]
	v_fma_f64 v[65:66], -v[59:60], v[59:60], v[49:50]
	v_fma_f64 v[55:56], v[65:66], v[55:56], v[59:60]
	v_mov_b32_e32 v59, 0x260
	v_cmp_class_f64_e32 vcc, v[49:50], v59
	v_ldexp_f64 v[55:56], v[55:56], v44
	v_mov_b32_e32 v44, s7
	v_cndmask_b32_e32 v56, v56, v50, vcc
	v_cndmask_b32_e32 v55, v55, v49, vcc
	v_fma_f64 v[49:50], v[55:56], v[55:56], 0
	v_div_scale_f64 v[59:60], s[0:1], v[49:50], v[49:50], 1.0
	s_mov_b32 s0, 0
	s_brev_b32 s1, 1
	v_mul_f64 v[75:76], v[29:30], s[0:1]
	v_fma_f64 v[75:76], -v[31:32], v[55:56], v[75:76]
	v_rcp_f64_e32 v[65:66], v[59:60]
	v_fma_f64 v[71:72], -v[59:60], v[65:66], 1.0
	v_fma_f64 v[65:66], v[65:66], v[71:72], v[65:66]
	v_div_scale_f64 v[71:72], vcc, 1.0, v[49:50], 1.0
	v_fma_f64 v[73:74], -v[59:60], v[65:66], 1.0
	v_fma_f64 v[65:66], v[65:66], v[73:74], v[65:66]
	v_mul_f64 v[73:74], v[71:72], v[65:66]
	v_fma_f64 v[59:60], -v[59:60], v[73:74], v[71:72]
	v_mul_f64 v[71:72], v[35:36], s[0:1]
	v_div_fmas_f64 v[59:60], v[59:60], v[65:66], v[73:74]
	v_mul_f64 v[65:66], v[33:34], s[0:1]
	v_mul_f64 v[73:74], v[31:32], s[0:1]
	v_fma_f64 v[71:72], v[33:34], v[55:56], v[71:72]
	v_add_co_u32_e32 v67, vcc, s6, v67
	v_addc_co_u32_e32 v68, vcc, v44, v68, vcc
	v_add_co_u32_e32 v85, vcc, s6, v61
	v_fma_f64 v[65:66], -v[35:36], v[55:56], v[65:66]
	v_fma_f64 v[73:74], v[29:30], v[55:56], v[73:74]
	v_addc_co_u32_e32 v86, vcc, v44, v62, vcc
	v_mov_b32_e32 v44, s11
	v_div_fixup_f64 v[59:60], v[59:60], v[49:50], 1.0
	v_mul_f64 v[49:50], v[65:66], v[59:60]
	v_mul_f64 v[65:66], v[71:72], v[59:60]
	;; [unrolled: 1-line block ×4, first 2 shown]
	s_waitcnt vmcnt(6)
	v_mul_f64 v[71:72], v[25:26], -v[49:50]
	v_mul_f64 v[73:74], v[27:28], v[49:50]
	s_waitcnt vmcnt(4)
	v_mul_f64 v[95:96], v[15:16], v[49:50]
	v_mul_f64 v[79:80], v[59:60], -v[31:32]
	v_mul_f64 v[81:82], v[29:30], v[59:60]
	v_mul_f64 v[89:90], v[25:26], v[59:60]
	v_mul_f64 v[97:98], v[13:14], -v[49:50]
	v_fma_f64 v[71:72], v[27:28], v[65:66], v[71:72]
	v_fma_f64 v[75:76], v[25:26], v[65:66], v[73:74]
	;; [unrolled: 1-line block ×4, first 2 shown]
	global_load_dwordx4 v[29:32], v[85:86], off
	v_fma_f64 v[77:78], -v[23:24], v[55:56], v[71:72]
	global_load_dwordx4 v[71:74], v[67:68], off
	v_fma_f64 v[75:76], -v[21:22], v[55:56], v[75:76]
	v_fma_f64 v[61:62], v[33:34], v[65:66], v[61:62]
	v_fma_f64 v[81:82], v[35:36], v[65:66], v[79:80]
	;; [unrolled: 1-line block ×3, first 2 shown]
	v_fma_f64 v[75:76], v[23:24], -v[59:60], v[75:76]
	v_fma_f64 v[79:80], -v[35:36], v[49:50], v[61:62]
	v_fma_f64 v[81:82], v[33:34], v[49:50], v[81:82]
	global_store_dwordx4 v[57:58], v[79:82], off
	global_store_dwordx4 v[63:64], v[75:78], off
	v_mul_f64 v[83:84], v[77:78], v[77:78]
	global_load_dwordx4 v[33:36], v[57:58], off
	v_mul_f64 v[79:80], v[59:60], -v[27:28]
	v_fma_f64 v[27:28], v[27:28], v[55:56], v[89:90]
	v_fma_f64 v[89:90], v[13:14], v[65:66], v[95:96]
	;; [unrolled: 1-line block ×5, first 2 shown]
	v_div_scale_f64 v[87:88], s[0:1], v[83:84], v[83:84], 1.0
	v_fma_f64 v[25:26], v[21:22], v[65:66], v[25:26]
	v_fma_f64 v[23:24], -v[23:24], v[49:50], v[25:26]
	v_fma_f64 v[25:26], v[21:22], v[49:50], v[27:28]
	v_rcp_f64_e32 v[57:58], v[87:88]
	v_fma_f64 v[61:62], -v[87:88], v[57:58], 1.0
	v_fma_f64 v[57:58], v[57:58], v[61:62], v[57:58]
	v_div_scale_f64 v[61:62], vcc, 1.0, v[83:84], 1.0
	s_waitcnt vmcnt(3)
	v_mul_f64 v[81:82], v[71:72], -v[49:50]
	v_mul_f64 v[91:92], v[59:60], -v[73:74]
	v_mul_f64 v[93:94], v[59:60], v[71:72]
	v_fma_f64 v[63:64], -v[87:88], v[57:58], 1.0
	v_fma_f64 v[81:82], v[73:74], v[65:66], v[81:82]
	v_fma_f64 v[57:58], v[57:58], v[63:64], v[57:58]
	v_mul_f64 v[63:64], v[49:50], v[73:74]
	v_fma_f64 v[73:74], v[73:74], v[55:56], v[93:94]
	v_fma_f64 v[81:82], -v[31:32], v[55:56], v[81:82]
	v_mul_f64 v[79:80], v[61:62], v[57:58]
	v_fma_f64 v[63:64], v[71:72], v[65:66], v[63:64]
	v_fma_f64 v[71:72], v[71:72], v[55:56], v[91:92]
	;; [unrolled: 1-line block ×5, first 2 shown]
	v_fma_f64 v[61:62], -v[87:88], v[79:80], v[61:62]
	v_fma_f64 v[63:64], -v[29:30], v[55:56], v[63:64]
	;; [unrolled: 1-line block ×4, first 2 shown]
	v_mul_f64 v[21:22], v[77:78], v[81:82]
	v_fma_f64 v[71:72], v[29:30], v[65:66], v[71:72]
	v_div_fmas_f64 v[57:58], v[61:62], v[57:58], v[79:80]
	v_fma_f64 v[79:80], v[31:32], -v[59:60], v[63:64]
	v_fma_f64 v[61:62], v[19:20], -v[59:60], v[87:88]
	v_fma_f64 v[63:64], v[17:18], v[59:60], v[89:90]
	global_store_dwordx4 v[51:52], v[23:26], off
	global_store_dwordx4 v[53:54], v[61:64], off
	v_mul_f64 v[27:28], v[77:78], -v[79:80]
	v_fma_f64 v[53:54], v[79:80], v[75:76], v[21:22]
	s_waitcnt vmcnt(2)
	v_mul_f64 v[61:62], v[35:36], v[35:36]
	global_load_dwordx4 v[21:24], v[51:52], off
	v_fma_f64 v[25:26], -v[31:32], v[49:50], v[71:72]
	v_div_fixup_f64 v[57:58], v[57:58], v[83:84], 1.0
	v_mul_f64 v[83:84], v[11:12], v[49:50]
	v_mul_f64 v[79:80], v[59:60], -v[15:16]
	v_fma_f64 v[63:64], v[81:82], v[75:76], v[27:28]
	v_fma_f64 v[27:28], v[29:30], v[49:50], v[73:74]
	;; [unrolled: 1-line block ×3, first 2 shown]
	v_mul_f64 v[81:82], v[13:14], v[59:60]
	v_mul_f64 v[29:30], v[57:58], v[53:54]
	v_fma_f64 v[13:14], v[13:14], v[55:56], v[79:80]
	v_mul_f64 v[31:32], v[57:58], v[63:64]
	global_store_dwordx4 v[85:86], v[25:28], off
	v_div_scale_f64 v[57:58], s[0:1], v[61:62], v[61:62], 1.0
	s_sub_i32 s0, s5, s18
	v_add_u32_e32 v51, s0, v70
	v_ashrrev_i32_e32 v52, 31, v51
	v_lshlrev_b64 v[71:72], 4, v[51:52]
	global_store_dwordx4 v[67:68], v[29:32], off
	global_load_dwordx4 v[25:28], v[85:86], off
	v_add_co_u32_e32 v51, vcc, s10, v71
	v_addc_co_u32_e32 v52, vcc, v44, v72, vcc
	global_load_dwordx4 v[51:54], v[51:52], off
	v_fma_f64 v[15:16], v[15:16], v[55:56], v[81:82]
	v_fma_f64 v[13:14], v[17:18], v[65:66], v[13:14]
	v_mov_b32_e32 v44, s13
	v_rcp_f64_e32 v[63:64], v[57:58]
	s_sub_i32 s0, s0, s18
	s_cmp_lt_i32 s16, 5
	v_fma_f64 v[15:16], v[19:20], v[65:66], v[15:16]
	v_fma_f64 v[13:14], -v[19:20], v[49:50], v[13:14]
	v_fma_f64 v[15:16], v[17:18], v[49:50], v[15:16]
	v_fma_f64 v[73:74], -v[57:58], v[63:64], 1.0
	v_fma_f64 v[63:64], v[63:64], v[73:74], v[63:64]
	v_div_scale_f64 v[73:74], vcc, 1.0, v[61:62], 1.0
	v_fma_f64 v[75:76], -v[57:58], v[63:64], 1.0
	v_fma_f64 v[63:64], v[63:64], v[75:76], v[63:64]
	v_mul_f64 v[75:76], v[73:74], v[63:64]
	s_waitcnt vmcnt(4)
	v_mul_f64 v[77:78], v[31:32], v[21:22]
	v_mul_f64 v[31:32], v[31:32], -v[23:24]
	v_fma_f64 v[57:58], -v[57:58], v[75:76], v[73:74]
	v_fma_f64 v[23:24], v[23:24], v[29:30], v[77:78]
	v_fma_f64 v[21:22], v[21:22], v[29:30], v[31:32]
	v_mul_f64 v[29:30], v[9:10], -v[49:50]
	v_fma_f64 v[31:32], v[9:10], v[65:66], v[83:84]
	v_div_fmas_f64 v[57:58], v[57:58], v[63:64], v[75:76]
	v_mov_b32_e32 v63, s15
	v_mov_b32_e32 v75, s13
	;; [unrolled: 1-line block ×3, first 2 shown]
	s_waitcnt vmcnt(1)
	v_add_f64 v[23:24], v[27:28], -v[23:24]
	v_add_f64 v[21:22], v[25:26], -v[21:22]
	v_fma_f64 v[25:26], v[11:12], v[65:66], v[29:30]
	v_fma_f64 v[27:28], -v[5:6], v[55:56], v[31:32]
	v_mul_f64 v[29:30], v[23:24], v[35:36]
	v_mul_f64 v[31:32], v[35:36], -v[21:22]
	v_fma_f64 v[25:26], -v[7:8], v[55:56], v[25:26]
	v_div_fixup_f64 v[57:58], v[57:58], v[61:62], 1.0
	v_add_co_u32_e32 v35, vcc, s12, v71
	v_addc_co_u32_e32 v36, vcc, v44, v72, vcc
	v_fma_f64 v[29:30], v[21:22], v[33:34], v[29:30]
	v_fma_f64 v[31:32], v[23:24], v[33:34], v[31:32]
	v_fma_f64 v[17:18], v[7:8], -v[59:60], v[27:28]
	v_fma_f64 v[19:20], v[5:6], v[59:60], v[25:26]
	global_load_dwordx4 v[21:24], v[35:36], off
	s_waitcnt vmcnt(1)
	v_mul_f64 v[33:34], v[53:54], v[53:54]
	global_store_dwordx4 v[45:46], v[13:16], off
	global_store_dwordx4 v[47:48], v[17:20], off
	v_mul_f64 v[25:26], v[29:30], v[57:58]
	v_mul_f64 v[27:28], v[31:32], v[57:58]
	v_add_co_u32_e32 v29, vcc, s14, v71
	v_addc_co_u32_e32 v30, vcc, v63, v72, vcc
	global_load_dwordx4 v[13:16], v[29:30], off
	v_add_co_u32_e32 v46, vcc, s6, v71
	global_store_dwordx4 v[85:86], v[25:28], off
	global_load_dwordx4 v[17:20], v[67:68], off
	v_fma_f64 v[44:45], v[51:52], v[51:52], v[33:34]
	v_addc_co_u32_e32 v47, vcc, v69, v72, vcc
	global_load_dwordx4 v[29:32], v[46:47], off
	v_add_u32_e32 v61, s0, v70
	v_ashrrev_i32_e32 v62, 31, v61
	v_lshlrev_b64 v[61:62], 4, v[61:62]
	v_mov_b32_e32 v48, s11
	v_div_scale_f64 v[57:58], s[2:3], v[44:45], v[44:45], 1.0
	v_rcp_f64_e32 v[33:34], v[57:58]
	v_fma_f64 v[35:36], -v[57:58], v[33:34], 1.0
	v_fma_f64 v[63:64], v[33:34], v[35:36], v[33:34]
	v_add_co_u32_e32 v33, vcc, s10, v61
	v_addc_co_u32_e32 v34, vcc, v48, v62, vcc
	global_load_dwordx4 v[33:36], v[33:34], off
	v_div_scale_f64 v[69:70], vcc, 1.0, v[44:45], 1.0
	v_fma_f64 v[71:72], -v[57:58], v[63:64], 1.0
	v_mov_b32_e32 v48, s7
	v_fma_f64 v[63:64], v[63:64], v[71:72], v[63:64]
	s_waitcnt vmcnt(7)
	v_mul_f64 v[71:72], v[27:28], -v[23:24]
	v_mul_f64 v[27:28], v[21:22], v[27:28]
	v_mul_f64 v[73:74], v[69:70], v[63:64]
	v_fma_f64 v[21:22], v[21:22], v[25:26], v[71:72]
	v_fma_f64 v[23:24], v[23:24], v[25:26], v[27:28]
	v_mad_u64_u32 v[27:28], s[0:1], s17, -3, v[43:44]
	v_mov_b32_e32 v71, s21
	s_waitcnt vmcnt(2)
	v_mul_f64 v[25:26], v[19:20], v[13:14]
	v_mul_f64 v[19:20], v[19:20], -v[15:16]
	v_fma_f64 v[57:58], -v[57:58], v[73:74], v[69:70]
	v_ashrrev_i32_e32 v28, 31, v27
	s_waitcnt vmcnt(1)
	v_add_f64 v[21:22], v[29:30], -v[21:22]
	v_add_f64 v[23:24], v[31:32], -v[23:24]
	v_mul_f64 v[29:30], v[1:2], -v[49:50]
	v_fma_f64 v[15:16], v[15:16], v[17:18], v[25:26]
	v_fma_f64 v[13:14], v[13:14], v[17:18], v[19:20]
	v_lshlrev_b64 v[25:26], 4, v[27:28]
	v_mul_f64 v[17:18], v[59:60], -v[11:12]
	v_mul_f64 v[19:20], v[9:10], v[59:60]
	v_div_fmas_f64 v[27:28], v[57:58], v[63:64], v[73:74]
	v_add_co_u32_e32 v57, vcc, s6, v61
	v_add_f64 v[15:16], v[23:24], -v[15:16]
	v_add_f64 v[13:14], v[21:22], -v[13:14]
	v_addc_co_u32_e32 v58, vcc, v48, v62, vcc
	v_fma_f64 v[9:10], v[9:10], v[55:56], v[17:18]
	v_fma_f64 v[11:12], v[11:12], v[55:56], v[19:20]
	v_add_co_u32_e32 v21, vcc, s12, v61
	v_mul_f64 v[17:18], v[53:54], v[15:16]
	v_mul_f64 v[19:20], v[53:54], -v[13:14]
	v_addc_co_u32_e32 v22, vcc, v75, v62, vcc
	v_mul_f64 v[23:24], v[3:4], v[49:50]
	v_div_fixup_f64 v[27:28], v[27:28], v[44:45], 1.0
	v_fma_f64 v[31:32], v[5:6], v[65:66], v[9:10]
	v_fma_f64 v[53:54], v[7:8], v[65:66], v[11:12]
	;; [unrolled: 1-line block ×4, first 2 shown]
	global_load_dwordx4 v[13:16], v[21:22], off
	v_add_co_u32_e32 v43, vcc, s14, v61
	v_addc_co_u32_e32 v44, vcc, v76, v62, vcc
	v_fma_f64 v[9:10], v[1:2], v[65:66], v[23:24]
	v_mul_f64 v[17:18], v[17:18], v[27:28]
	v_mul_f64 v[19:20], v[27:28], v[19:20]
	v_fma_f64 v[21:22], -v[7:8], v[49:50], v[31:32]
	v_fma_f64 v[23:24], v[5:6], v[49:50], v[53:54]
	v_add_co_u32_e32 v48, vcc, s20, v25
	v_fma_f64 v[11:12], v[3:4], v[65:66], v[29:30]
	v_addc_co_u32_e32 v49, vcc, v71, v26, vcc
	global_store_dwordx4 v[46:47], v[17:20], off
	global_load_dwordx4 v[5:8], v[43:44], off
	global_load_dwordx4 v[25:28], v[85:86], off
	s_nop 0
	global_store_dwordx4 v[39:40], v[21:24], off
	global_store_dwordx4 v[41:42], v[9:12], off
	s_waitcnt vmcnt(6)
	v_mul_f64 v[39:40], v[35:36], v[35:36]
	global_load_dwordx4 v[9:12], v[57:58], off
	global_load_dwordx4 v[21:24], v[48:49], off
	;; [unrolled: 1-line block ×3, first 2 shown]
	v_fma_f64 v[39:40], v[33:34], v[33:34], v[39:40]
	v_div_scale_f64 v[41:42], s[0:1], v[39:40], v[39:40], 1.0
	v_rcp_f64_e32 v[43:44], v[41:42]
	v_fma_f64 v[45:46], -v[41:42], v[43:44], 1.0
	v_fma_f64 v[43:44], v[43:44], v[45:46], v[43:44]
	v_div_scale_f64 v[45:46], vcc, 1.0, v[39:40], 1.0
	s_waitcnt vmcnt(8)
	v_mul_f64 v[49:50], v[19:20], -v[15:16]
	v_mul_f64 v[19:20], v[13:14], v[19:20]
	v_fma_f64 v[47:48], -v[41:42], v[43:44], 1.0
	v_fma_f64 v[13:14], v[13:14], v[17:18], v[49:50]
	v_fma_f64 v[15:16], v[15:16], v[17:18], v[19:20]
	v_fma_f64 v[43:44], v[43:44], v[47:48], v[43:44]
	s_waitcnt vmcnt(5)
	v_mul_f64 v[17:18], v[27:28], v[5:6]
	v_mul_f64 v[19:20], v[27:28], -v[7:8]
	s_waitcnt vmcnt(2)
	v_add_f64 v[9:10], v[9:10], -v[13:14]
	v_mul_f64 v[27:28], v[45:46], v[43:44]
	v_add_f64 v[11:12], v[11:12], -v[15:16]
	s_waitcnt vmcnt(0)
	v_mul_f64 v[13:14], v[31:32], -v[23:24]
	v_mul_f64 v[15:16], v[31:32], v[21:22]
	v_fma_f64 v[7:8], v[7:8], v[25:26], v[17:18]
	v_fma_f64 v[5:6], v[5:6], v[25:26], v[19:20]
	v_fma_f64 v[17:18], -v[41:42], v[27:28], v[45:46]
	v_fma_f64 v[13:14], v[21:22], v[29:30], v[13:14]
	v_fma_f64 v[15:16], v[23:24], v[29:30], v[15:16]
	v_add_f64 v[7:8], v[11:12], -v[7:8]
	v_add_f64 v[5:6], v[9:10], -v[5:6]
	v_div_fmas_f64 v[9:10], v[17:18], v[43:44], v[27:28]
	v_mul_f64 v[17:18], v[1:2], v[59:60]
	v_add_f64 v[7:8], v[7:8], -v[15:16]
	v_add_f64 v[5:6], v[5:6], -v[13:14]
	v_mul_f64 v[15:16], v[59:60], -v[3:4]
	v_fma_f64 v[3:4], v[3:4], v[55:56], v[17:18]
	v_mul_f64 v[11:12], v[35:36], v[7:8]
	v_mul_f64 v[13:14], v[35:36], -v[5:6]
	v_fma_f64 v[1:2], v[1:2], v[55:56], v[15:16]
	v_div_fixup_f64 v[9:10], v[9:10], v[39:40], 1.0
	v_fma_f64 v[5:6], v[5:6], v[33:34], v[11:12]
	v_fma_f64 v[7:8], v[7:8], v[33:34], v[13:14]
	v_mul_f64 v[5:6], v[5:6], v[9:10]
	v_mul_f64 v[7:8], v[9:10], v[7:8]
	v_mov_b32_e32 v10, s23
	v_add_co_u32_e32 v9, vcc, s22, v37
	v_addc_co_u32_e32 v10, vcc, v10, v38, vcc
	global_store_dwordx4 v[9:10], v[1:4], off
	global_store_dwordx4 v[57:58], v[5:8], off
	s_cbranch_scc1 .LBB11_25
; %bb.23:
	s_add_i32 s1, s16, -5
	s_add_i32 s0, s16, -4
	s_mul_i32 s2, s17, s1
	v_add_u32_e32 v1, s2, v0
	s_mul_i32 s2, s18, s0
	v_add_u32_e32 v2, s2, v0
	s_add_i32 s2, s16, -3
	s_mul_i32 s2, s18, s2
	v_add_u32_e32 v3, s2, v0
	s_mul_i32 s2, s18, s28
	s_mul_i32 s1, s18, s1
	v_add_u32_e32 v4, s2, v0
	v_add_u32_e32 v5, s4, v0
	;; [unrolled: 1-line block ×3, first 2 shown]
.LBB11_24:                              ; =>This Inner Loop Header: Depth=1
	v_add_u32_e32 v6, s19, v0
	v_ashrrev_i32_e32 v7, 31, v6
	v_lshlrev_b64 v[16:17], 4, v[6:7]
	v_mov_b32_e32 v8, s11
	v_add_co_u32_e32 v6, vcc, s10, v16
	v_addc_co_u32_e32 v7, vcc, v8, v17, vcc
	global_load_dwordx4 v[6:9], v[6:7], off
	v_mov_b32_e32 v22, s7
	v_add_u32_e32 v10, s19, v2
	v_add_co_u32_e32 v46, vcc, s6, v16
	v_ashrrev_i32_e32 v11, 31, v10
	v_addc_co_u32_e32 v47, vcc, v22, v17, vcc
	v_mov_b32_e32 v23, s13
	v_lshlrev_b64 v[10:11], 4, v[10:11]
	v_add_co_u32_e32 v48, vcc, s12, v16
	v_addc_co_u32_e32 v49, vcc, v23, v17, vcc
	v_add_u32_e32 v12, s19, v3
	v_add_co_u32_e32 v50, vcc, s6, v10
	v_ashrrev_i32_e32 v13, 31, v12
	v_addc_co_u32_e32 v51, vcc, v22, v11, vcc
	v_mov_b32_e32 v24, s15
	v_add_u32_e32 v14, s19, v1
	v_lshlrev_b64 v[12:13], 4, v[12:13]
	v_add_co_u32_e32 v52, vcc, s14, v16
	v_ashrrev_i32_e32 v15, 31, v14
	v_addc_co_u32_e32 v53, vcc, v24, v17, vcc
	v_add_u32_e32 v18, s19, v4
	v_lshlrev_b64 v[14:15], 4, v[14:15]
	v_add_co_u32_e32 v54, vcc, s6, v12
	v_ashrrev_i32_e32 v19, 31, v18
	v_addc_co_u32_e32 v55, vcc, v22, v13, vcc
	v_mov_b32_e32 v25, s21
	v_lshlrev_b64 v[18:19], 4, v[18:19]
	v_add_co_u32_e32 v56, vcc, s20, v14
	v_addc_co_u32_e32 v57, vcc, v25, v15, vcc
	v_add_u32_e32 v20, s19, v5
	v_add_co_u32_e32 v58, vcc, s6, v18
	v_ashrrev_i32_e32 v21, 31, v20
	v_addc_co_u32_e32 v59, vcc, v22, v19, vcc
	v_mov_b32_e32 v26, s23
	v_lshlrev_b64 v[20:21], 4, v[20:21]
	v_add_co_u32_e32 v60, vcc, s22, v14
	v_addc_co_u32_e32 v61, vcc, v26, v15, vcc
	v_add_co_u32_e32 v62, vcc, s6, v20
	v_addc_co_u32_e32 v63, vcc, v22, v21, vcc
	global_load_dwordx4 v[10:13], v[50:51], off
	global_load_dwordx4 v[14:17], v[48:49], off
	;; [unrolled: 1-line block ×9, first 2 shown]
	s_add_i32 s0, s0, -1
	v_subrev_u32_e32 v1, s17, v1
	v_subrev_u32_e32 v2, s18, v2
	;; [unrolled: 1-line block ×6, first 2 shown]
	s_cmp_lg_u32 s0, 0
	s_waitcnt vmcnt(9)
	v_mul_f64 v[48:49], v[8:9], v[8:9]
	v_fma_f64 v[48:49], v[6:7], v[6:7], v[48:49]
	v_div_scale_f64 v[50:51], s[2:3], v[48:49], v[48:49], 1.0
	v_rcp_f64_e32 v[52:53], v[50:51]
	v_fma_f64 v[54:55], -v[50:51], v[52:53], 1.0
	s_waitcnt vmcnt(7)
	v_mul_f64 v[56:57], v[12:13], -v[16:17]
	v_mul_f64 v[12:13], v[12:13], v[14:15]
	s_waitcnt vmcnt(5)
	v_mul_f64 v[58:59], v[20:21], -v[24:25]
	v_mul_f64 v[20:21], v[20:21], v[22:23]
	v_fma_f64 v[52:53], v[52:53], v[54:55], v[52:53]
	s_waitcnt vmcnt(3)
	v_mul_f64 v[54:55], v[28:29], -v[32:33]
	v_fma_f64 v[14:15], v[14:15], v[10:11], v[56:57]
	v_fma_f64 v[10:11], v[16:17], v[10:11], v[12:13]
	v_div_scale_f64 v[12:13], vcc, 1.0, v[48:49], 1.0
	v_mul_f64 v[28:29], v[28:29], v[30:31]
	v_fma_f64 v[22:23], v[22:23], v[18:19], v[58:59]
	v_fma_f64 v[16:17], -v[50:51], v[52:53], 1.0
	v_fma_f64 v[18:19], v[24:25], v[18:19], v[20:21]
	s_waitcnt vmcnt(2)
	v_add_f64 v[14:15], v[34:35], -v[14:15]
	v_add_f64 v[10:11], v[36:37], -v[10:11]
	s_waitcnt vmcnt(0)
	v_mul_f64 v[56:57], v[40:41], -v[44:45]
	v_mul_f64 v[20:21], v[40:41], v[42:43]
	v_fma_f64 v[24:25], v[30:31], v[26:27], v[54:55]
	v_fma_f64 v[26:27], v[32:33], v[26:27], v[28:29]
	;; [unrolled: 1-line block ×3, first 2 shown]
	v_add_f64 v[14:15], v[14:15], -v[22:23]
	v_add_f64 v[10:11], v[10:11], -v[18:19]
	v_fma_f64 v[22:23], v[42:43], v[38:39], v[56:57]
	v_fma_f64 v[20:21], v[44:45], v[38:39], v[20:21]
	v_mul_f64 v[18:19], v[12:13], v[16:17]
	v_add_f64 v[14:15], v[14:15], -v[24:25]
	v_add_f64 v[10:11], v[10:11], -v[26:27]
	v_fma_f64 v[12:13], -v[50:51], v[18:19], v[12:13]
	v_add_f64 v[14:15], v[14:15], -v[22:23]
	v_add_f64 v[10:11], v[10:11], -v[20:21]
	v_div_fmas_f64 v[12:13], v[12:13], v[16:17], v[18:19]
	v_mul_f64 v[16:17], v[8:9], v[10:11]
	v_mul_f64 v[8:9], v[8:9], -v[14:15]
	v_fma_f64 v[14:15], v[14:15], v[6:7], v[16:17]
	v_fma_f64 v[8:9], v[10:11], v[6:7], v[8:9]
	v_div_fixup_f64 v[10:11], v[12:13], v[48:49], 1.0
	v_mul_f64 v[6:7], v[14:15], v[10:11]
	v_mul_f64 v[8:9], v[10:11], v[8:9]
	global_store_dwordx4 v[46:47], v[6:9], off
	s_cbranch_scc1 .LBB11_24
.LBB11_25:
	s_endpgm
	.section	.rodata,"a",@progbits
	.p2align	6, 0x0
	.amdhsa_kernel _ZN9rocsparseL39gpsv_interleaved_batch_givens_qr_kernelILj128E21rocsparse_complex_numIdEEEviiiPT0_S4_S4_S4_S4_S4_S4_S4_
		.amdhsa_group_segment_fixed_size 0
		.amdhsa_private_segment_fixed_size 0
		.amdhsa_kernarg_size 80
		.amdhsa_user_sgpr_count 6
		.amdhsa_user_sgpr_private_segment_buffer 1
		.amdhsa_user_sgpr_dispatch_ptr 0
		.amdhsa_user_sgpr_queue_ptr 0
		.amdhsa_user_sgpr_kernarg_segment_ptr 1
		.amdhsa_user_sgpr_dispatch_id 0
		.amdhsa_user_sgpr_flat_scratch_init 0
		.amdhsa_user_sgpr_private_segment_size 0
		.amdhsa_uses_dynamic_stack 0
		.amdhsa_system_sgpr_private_segment_wavefront_offset 0
		.amdhsa_system_sgpr_workgroup_id_x 1
		.amdhsa_system_sgpr_workgroup_id_y 0
		.amdhsa_system_sgpr_workgroup_id_z 0
		.amdhsa_system_sgpr_workgroup_info 0
		.amdhsa_system_vgpr_workitem_id 0
		.amdhsa_next_free_vgpr 99
		.amdhsa_next_free_sgpr 32
		.amdhsa_reserve_vcc 1
		.amdhsa_reserve_flat_scratch 0
		.amdhsa_float_round_mode_32 0
		.amdhsa_float_round_mode_16_64 0
		.amdhsa_float_denorm_mode_32 3
		.amdhsa_float_denorm_mode_16_64 3
		.amdhsa_dx10_clamp 1
		.amdhsa_ieee_mode 1
		.amdhsa_fp16_overflow 0
		.amdhsa_exception_fp_ieee_invalid_op 0
		.amdhsa_exception_fp_denorm_src 0
		.amdhsa_exception_fp_ieee_div_zero 0
		.amdhsa_exception_fp_ieee_overflow 0
		.amdhsa_exception_fp_ieee_underflow 0
		.amdhsa_exception_fp_ieee_inexact 0
		.amdhsa_exception_int_div_zero 0
	.end_amdhsa_kernel
	.section	.text._ZN9rocsparseL39gpsv_interleaved_batch_givens_qr_kernelILj128E21rocsparse_complex_numIdEEEviiiPT0_S4_S4_S4_S4_S4_S4_S4_,"axG",@progbits,_ZN9rocsparseL39gpsv_interleaved_batch_givens_qr_kernelILj128E21rocsparse_complex_numIdEEEviiiPT0_S4_S4_S4_S4_S4_S4_S4_,comdat
.Lfunc_end11:
	.size	_ZN9rocsparseL39gpsv_interleaved_batch_givens_qr_kernelILj128E21rocsparse_complex_numIdEEEviiiPT0_S4_S4_S4_S4_S4_S4_S4_, .Lfunc_end11-_ZN9rocsparseL39gpsv_interleaved_batch_givens_qr_kernelILj128E21rocsparse_complex_numIdEEEviiiPT0_S4_S4_S4_S4_S4_S4_S4_
                                        ; -- End function
	.set _ZN9rocsparseL39gpsv_interleaved_batch_givens_qr_kernelILj128E21rocsparse_complex_numIdEEEviiiPT0_S4_S4_S4_S4_S4_S4_S4_.num_vgpr, 99
	.set _ZN9rocsparseL39gpsv_interleaved_batch_givens_qr_kernelILj128E21rocsparse_complex_numIdEEEviiiPT0_S4_S4_S4_S4_S4_S4_S4_.num_agpr, 0
	.set _ZN9rocsparseL39gpsv_interleaved_batch_givens_qr_kernelILj128E21rocsparse_complex_numIdEEEviiiPT0_S4_S4_S4_S4_S4_S4_S4_.numbered_sgpr, 32
	.set _ZN9rocsparseL39gpsv_interleaved_batch_givens_qr_kernelILj128E21rocsparse_complex_numIdEEEviiiPT0_S4_S4_S4_S4_S4_S4_S4_.num_named_barrier, 0
	.set _ZN9rocsparseL39gpsv_interleaved_batch_givens_qr_kernelILj128E21rocsparse_complex_numIdEEEviiiPT0_S4_S4_S4_S4_S4_S4_S4_.private_seg_size, 0
	.set _ZN9rocsparseL39gpsv_interleaved_batch_givens_qr_kernelILj128E21rocsparse_complex_numIdEEEviiiPT0_S4_S4_S4_S4_S4_S4_S4_.uses_vcc, 1
	.set _ZN9rocsparseL39gpsv_interleaved_batch_givens_qr_kernelILj128E21rocsparse_complex_numIdEEEviiiPT0_S4_S4_S4_S4_S4_S4_S4_.uses_flat_scratch, 0
	.set _ZN9rocsparseL39gpsv_interleaved_batch_givens_qr_kernelILj128E21rocsparse_complex_numIdEEEviiiPT0_S4_S4_S4_S4_S4_S4_S4_.has_dyn_sized_stack, 0
	.set _ZN9rocsparseL39gpsv_interleaved_batch_givens_qr_kernelILj128E21rocsparse_complex_numIdEEEviiiPT0_S4_S4_S4_S4_S4_S4_S4_.has_recursion, 0
	.set _ZN9rocsparseL39gpsv_interleaved_batch_givens_qr_kernelILj128E21rocsparse_complex_numIdEEEviiiPT0_S4_S4_S4_S4_S4_S4_S4_.has_indirect_call, 0
	.section	.AMDGPU.csdata,"",@progbits
; Kernel info:
; codeLenInByte = 7896
; TotalNumSgprs: 36
; NumVgprs: 99
; ScratchSize: 0
; MemoryBound: 0
; FloatMode: 240
; IeeeMode: 1
; LDSByteSize: 0 bytes/workgroup (compile time only)
; SGPRBlocks: 4
; VGPRBlocks: 24
; NumSGPRsForWavesPerEU: 36
; NumVGPRsForWavesPerEU: 99
; Occupancy: 2
; WaveLimiterHint : 0
; COMPUTE_PGM_RSRC2:SCRATCH_EN: 0
; COMPUTE_PGM_RSRC2:USER_SGPR: 6
; COMPUTE_PGM_RSRC2:TRAP_HANDLER: 0
; COMPUTE_PGM_RSRC2:TGID_X_EN: 1
; COMPUTE_PGM_RSRC2:TGID_Y_EN: 0
; COMPUTE_PGM_RSRC2:TGID_Z_EN: 0
; COMPUTE_PGM_RSRC2:TIDIG_COMP_CNT: 0
	.section	.AMDGPU.gpr_maximums,"",@progbits
	.set amdgpu.max_num_vgpr, 0
	.set amdgpu.max_num_agpr, 0
	.set amdgpu.max_num_sgpr, 0
	.section	.AMDGPU.csdata,"",@progbits
	.type	__hip_cuid_77cb01de6ccecc20,@object ; @__hip_cuid_77cb01de6ccecc20
	.section	.bss,"aw",@nobits
	.globl	__hip_cuid_77cb01de6ccecc20
__hip_cuid_77cb01de6ccecc20:
	.byte	0                               ; 0x0
	.size	__hip_cuid_77cb01de6ccecc20, 1

	.ident	"AMD clang version 22.0.0git (https://github.com/RadeonOpenCompute/llvm-project roc-7.2.4 26084 f58b06dce1f9c15707c5f808fd002e18c2accf7e)"
	.section	".note.GNU-stack","",@progbits
	.addrsig
	.addrsig_sym __hip_cuid_77cb01de6ccecc20
	.amdgpu_metadata
---
amdhsa.kernels:
  - .args:
      - .offset:         0
        .size:           4
        .value_kind:     by_value
      - .offset:         4
        .size:           4
        .value_kind:     by_value
      - .offset:         8
        .size:           4
        .value_kind:     by_value
      - .actual_access:  read_only
        .address_space:  global
        .offset:         16
        .size:           8
        .value_kind:     global_buffer
      - .actual_access:  write_only
        .address_space:  global
        .offset:         24
        .size:           8
        .value_kind:     global_buffer
      - .offset:         32
        .size:           4
        .value_kind:     hidden_block_count_x
      - .offset:         36
        .size:           4
        .value_kind:     hidden_block_count_y
      - .offset:         40
        .size:           4
        .value_kind:     hidden_block_count_z
      - .offset:         44
        .size:           2
        .value_kind:     hidden_group_size_x
      - .offset:         46
        .size:           2
        .value_kind:     hidden_group_size_y
      - .offset:         48
        .size:           2
        .value_kind:     hidden_group_size_z
      - .offset:         50
        .size:           2
        .value_kind:     hidden_remainder_x
      - .offset:         52
        .size:           2
        .value_kind:     hidden_remainder_y
      - .offset:         54
        .size:           2
        .value_kind:     hidden_remainder_z
      - .offset:         72
        .size:           8
        .value_kind:     hidden_global_offset_x
      - .offset:         80
        .size:           8
        .value_kind:     hidden_global_offset_y
      - .offset:         88
        .size:           8
        .value_kind:     hidden_global_offset_z
      - .offset:         96
        .size:           2
        .value_kind:     hidden_grid_dims
    .group_segment_fixed_size: 0
    .kernarg_segment_align: 8
    .kernarg_segment_size: 288
    .language:       OpenCL C
    .language_version:
      - 2
      - 0
    .max_flat_workgroup_size: 256
    .name:           _ZN9rocsparseL19gpsv_strided_gatherILj256EfEEviiiPKT0_PS1_
    .private_segment_fixed_size: 0
    .sgpr_count:     14
    .sgpr_spill_count: 0
    .symbol:         _ZN9rocsparseL19gpsv_strided_gatherILj256EfEEviiiPKT0_PS1_.kd
    .uniform_work_group_size: 1
    .uses_dynamic_stack: false
    .vgpr_count:     8
    .vgpr_spill_count: 0
    .wavefront_size: 64
  - .args:
      - .offset:         0
        .size:           4
        .value_kind:     by_value
      - .offset:         4
        .size:           4
        .value_kind:     by_value
      - .offset:         8
        .size:           4
        .value_kind:     by_value
      - .address_space:  global
        .offset:         16
        .size:           8
        .value_kind:     global_buffer
      - .address_space:  global
        .offset:         24
        .size:           8
        .value_kind:     global_buffer
      - .address_space:  global
        .offset:         32
        .size:           8
        .value_kind:     global_buffer
      - .address_space:  global
        .offset:         40
        .size:           8
        .value_kind:     global_buffer
      - .address_space:  global
        .offset:         48
        .size:           8
        .value_kind:     global_buffer
      - .address_space:  global
        .offset:         56
        .size:           8
        .value_kind:     global_buffer
      - .address_space:  global
        .offset:         64
        .size:           8
        .value_kind:     global_buffer
      - .address_space:  global
        .offset:         72
        .size:           8
        .value_kind:     global_buffer
      - .address_space:  global
        .offset:         80
        .size:           8
        .value_kind:     global_buffer
      - .offset:         88
        .size:           4
        .value_kind:     hidden_block_count_x
      - .offset:         92
        .size:           4
        .value_kind:     hidden_block_count_y
      - .offset:         96
        .size:           4
        .value_kind:     hidden_block_count_z
      - .offset:         100
        .size:           2
        .value_kind:     hidden_group_size_x
      - .offset:         102
        .size:           2
        .value_kind:     hidden_group_size_y
      - .offset:         104
        .size:           2
        .value_kind:     hidden_group_size_z
      - .offset:         106
        .size:           2
        .value_kind:     hidden_remainder_x
      - .offset:         108
        .size:           2
        .value_kind:     hidden_remainder_y
      - .offset:         110
        .size:           2
        .value_kind:     hidden_remainder_z
      - .offset:         128
        .size:           8
        .value_kind:     hidden_global_offset_x
      - .offset:         136
        .size:           8
        .value_kind:     hidden_global_offset_y
      - .offset:         144
        .size:           8
        .value_kind:     hidden_global_offset_z
      - .offset:         152
        .size:           2
        .value_kind:     hidden_grid_dims
    .group_segment_fixed_size: 0
    .kernarg_segment_align: 8
    .kernarg_segment_size: 344
    .language:       OpenCL C
    .language_version:
      - 2
      - 0
    .max_flat_workgroup_size: 256
    .name:           _ZN9rocsparseL44gpsv_interleaved_batch_householder_qr_kernelILj256EfEEviiiPT0_S2_S2_S2_S2_S2_S2_S2_S2_
    .private_segment_fixed_size: 0
    .sgpr_count:     32
    .sgpr_spill_count: 0
    .symbol:         _ZN9rocsparseL44gpsv_interleaved_batch_householder_qr_kernelILj256EfEEviiiPT0_S2_S2_S2_S2_S2_S2_S2_S2_.kd
    .uniform_work_group_size: 1
    .uses_dynamic_stack: false
    .vgpr_count:     60
    .vgpr_spill_count: 0
    .wavefront_size: 64
  - .args:
      - .offset:         0
        .size:           4
        .value_kind:     by_value
      - .offset:         4
        .size:           4
        .value_kind:     by_value
      - .offset:         8
        .size:           4
        .value_kind:     by_value
      - .actual_access:  read_only
        .address_space:  global
        .offset:         16
        .size:           8
        .value_kind:     global_buffer
      - .address_space:  global
        .offset:         24
        .size:           8
        .value_kind:     global_buffer
      - .address_space:  global
        .offset:         32
        .size:           8
        .value_kind:     global_buffer
      - .address_space:  global
        .offset:         40
        .size:           8
        .value_kind:     global_buffer
      - .address_space:  global
        .offset:         48
        .size:           8
        .value_kind:     global_buffer
      - .address_space:  global
        .offset:         56
        .size:           8
        .value_kind:     global_buffer
      - .address_space:  global
        .offset:         64
        .size:           8
        .value_kind:     global_buffer
      - .address_space:  global
        .offset:         72
        .size:           8
        .value_kind:     global_buffer
    .group_segment_fixed_size: 0
    .kernarg_segment_align: 8
    .kernarg_segment_size: 80
    .language:       OpenCL C
    .language_version:
      - 2
      - 0
    .max_flat_workgroup_size: 128
    .name:           _ZN9rocsparseL39gpsv_interleaved_batch_givens_qr_kernelILj128EfEEviiiPT0_S2_S2_S2_S2_S2_S2_S2_
    .private_segment_fixed_size: 0
    .sgpr_count:     31
    .sgpr_spill_count: 0
    .symbol:         _ZN9rocsparseL39gpsv_interleaved_batch_givens_qr_kernelILj128EfEEviiiPT0_S2_S2_S2_S2_S2_S2_S2_.kd
    .uniform_work_group_size: 1
    .uses_dynamic_stack: false
    .vgpr_count:     40
    .vgpr_spill_count: 0
    .wavefront_size: 64
  - .args:
      - .offset:         0
        .size:           4
        .value_kind:     by_value
      - .offset:         4
        .size:           4
        .value_kind:     by_value
      - .offset:         8
        .size:           4
        .value_kind:     by_value
      - .actual_access:  read_only
        .address_space:  global
        .offset:         16
        .size:           8
        .value_kind:     global_buffer
      - .actual_access:  write_only
        .address_space:  global
        .offset:         24
        .size:           8
        .value_kind:     global_buffer
      - .offset:         32
        .size:           4
        .value_kind:     hidden_block_count_x
      - .offset:         36
        .size:           4
        .value_kind:     hidden_block_count_y
      - .offset:         40
        .size:           4
        .value_kind:     hidden_block_count_z
      - .offset:         44
        .size:           2
        .value_kind:     hidden_group_size_x
      - .offset:         46
        .size:           2
        .value_kind:     hidden_group_size_y
      - .offset:         48
        .size:           2
        .value_kind:     hidden_group_size_z
      - .offset:         50
        .size:           2
        .value_kind:     hidden_remainder_x
      - .offset:         52
        .size:           2
        .value_kind:     hidden_remainder_y
      - .offset:         54
        .size:           2
        .value_kind:     hidden_remainder_z
      - .offset:         72
        .size:           8
        .value_kind:     hidden_global_offset_x
      - .offset:         80
        .size:           8
        .value_kind:     hidden_global_offset_y
      - .offset:         88
        .size:           8
        .value_kind:     hidden_global_offset_z
      - .offset:         96
        .size:           2
        .value_kind:     hidden_grid_dims
    .group_segment_fixed_size: 0
    .kernarg_segment_align: 8
    .kernarg_segment_size: 288
    .language:       OpenCL C
    .language_version:
      - 2
      - 0
    .max_flat_workgroup_size: 256
    .name:           _ZN9rocsparseL19gpsv_strided_gatherILj256EdEEviiiPKT0_PS1_
    .private_segment_fixed_size: 0
    .sgpr_count:     14
    .sgpr_spill_count: 0
    .symbol:         _ZN9rocsparseL19gpsv_strided_gatherILj256EdEEviiiPKT0_PS1_.kd
    .uniform_work_group_size: 1
    .uses_dynamic_stack: false
    .vgpr_count:     10
    .vgpr_spill_count: 0
    .wavefront_size: 64
  - .args:
      - .offset:         0
        .size:           4
        .value_kind:     by_value
      - .offset:         4
        .size:           4
        .value_kind:     by_value
      - .offset:         8
        .size:           4
        .value_kind:     by_value
      - .address_space:  global
        .offset:         16
        .size:           8
        .value_kind:     global_buffer
      - .address_space:  global
        .offset:         24
        .size:           8
        .value_kind:     global_buffer
      - .address_space:  global
        .offset:         32
        .size:           8
        .value_kind:     global_buffer
      - .address_space:  global
        .offset:         40
        .size:           8
        .value_kind:     global_buffer
      - .address_space:  global
        .offset:         48
        .size:           8
        .value_kind:     global_buffer
      - .address_space:  global
        .offset:         56
        .size:           8
        .value_kind:     global_buffer
      - .address_space:  global
        .offset:         64
        .size:           8
        .value_kind:     global_buffer
      - .address_space:  global
        .offset:         72
        .size:           8
        .value_kind:     global_buffer
      - .address_space:  global
        .offset:         80
        .size:           8
        .value_kind:     global_buffer
      - .offset:         88
        .size:           4
        .value_kind:     hidden_block_count_x
      - .offset:         92
        .size:           4
        .value_kind:     hidden_block_count_y
      - .offset:         96
        .size:           4
        .value_kind:     hidden_block_count_z
      - .offset:         100
        .size:           2
        .value_kind:     hidden_group_size_x
      - .offset:         102
        .size:           2
        .value_kind:     hidden_group_size_y
      - .offset:         104
        .size:           2
        .value_kind:     hidden_group_size_z
      - .offset:         106
        .size:           2
        .value_kind:     hidden_remainder_x
      - .offset:         108
        .size:           2
        .value_kind:     hidden_remainder_y
      - .offset:         110
        .size:           2
        .value_kind:     hidden_remainder_z
      - .offset:         128
        .size:           8
        .value_kind:     hidden_global_offset_x
      - .offset:         136
        .size:           8
        .value_kind:     hidden_global_offset_y
      - .offset:         144
        .size:           8
        .value_kind:     hidden_global_offset_z
      - .offset:         152
        .size:           2
        .value_kind:     hidden_grid_dims
    .group_segment_fixed_size: 0
    .kernarg_segment_align: 8
    .kernarg_segment_size: 344
    .language:       OpenCL C
    .language_version:
      - 2
      - 0
    .max_flat_workgroup_size: 256
    .name:           _ZN9rocsparseL44gpsv_interleaved_batch_householder_qr_kernelILj256EdEEviiiPT0_S2_S2_S2_S2_S2_S2_S2_S2_
    .private_segment_fixed_size: 0
    .sgpr_count:     41
    .sgpr_spill_count: 0
    .symbol:         _ZN9rocsparseL44gpsv_interleaved_batch_householder_qr_kernelILj256EdEEviiiPT0_S2_S2_S2_S2_S2_S2_S2_S2_.kd
    .uniform_work_group_size: 1
    .uses_dynamic_stack: false
    .vgpr_count:     69
    .vgpr_spill_count: 0
    .wavefront_size: 64
  - .args:
      - .offset:         0
        .size:           4
        .value_kind:     by_value
      - .offset:         4
        .size:           4
        .value_kind:     by_value
      - .offset:         8
        .size:           4
        .value_kind:     by_value
      - .actual_access:  read_only
        .address_space:  global
        .offset:         16
        .size:           8
        .value_kind:     global_buffer
      - .address_space:  global
        .offset:         24
        .size:           8
        .value_kind:     global_buffer
      - .address_space:  global
        .offset:         32
        .size:           8
        .value_kind:     global_buffer
      - .address_space:  global
        .offset:         40
        .size:           8
        .value_kind:     global_buffer
      - .address_space:  global
        .offset:         48
        .size:           8
        .value_kind:     global_buffer
      - .address_space:  global
        .offset:         56
        .size:           8
        .value_kind:     global_buffer
      - .address_space:  global
        .offset:         64
        .size:           8
        .value_kind:     global_buffer
      - .address_space:  global
        .offset:         72
        .size:           8
        .value_kind:     global_buffer
    .group_segment_fixed_size: 0
    .kernarg_segment_align: 8
    .kernarg_segment_size: 80
    .language:       OpenCL C
    .language_version:
      - 2
      - 0
    .max_flat_workgroup_size: 128
    .name:           _ZN9rocsparseL39gpsv_interleaved_batch_givens_qr_kernelILj128EdEEviiiPT0_S2_S2_S2_S2_S2_S2_S2_
    .private_segment_fixed_size: 0
    .sgpr_count:     30
    .sgpr_spill_count: 0
    .symbol:         _ZN9rocsparseL39gpsv_interleaved_batch_givens_qr_kernelILj128EdEEviiiPT0_S2_S2_S2_S2_S2_S2_S2_.kd
    .uniform_work_group_size: 1
    .uses_dynamic_stack: false
    .vgpr_count:     53
    .vgpr_spill_count: 0
    .wavefront_size: 64
  - .args:
      - .offset:         0
        .size:           4
        .value_kind:     by_value
      - .offset:         4
        .size:           4
        .value_kind:     by_value
      - .offset:         8
        .size:           4
        .value_kind:     by_value
      - .actual_access:  read_only
        .address_space:  global
        .offset:         16
        .size:           8
        .value_kind:     global_buffer
      - .actual_access:  write_only
        .address_space:  global
        .offset:         24
        .size:           8
        .value_kind:     global_buffer
      - .offset:         32
        .size:           4
        .value_kind:     hidden_block_count_x
      - .offset:         36
        .size:           4
        .value_kind:     hidden_block_count_y
      - .offset:         40
        .size:           4
        .value_kind:     hidden_block_count_z
      - .offset:         44
        .size:           2
        .value_kind:     hidden_group_size_x
      - .offset:         46
        .size:           2
        .value_kind:     hidden_group_size_y
      - .offset:         48
        .size:           2
        .value_kind:     hidden_group_size_z
      - .offset:         50
        .size:           2
        .value_kind:     hidden_remainder_x
      - .offset:         52
        .size:           2
        .value_kind:     hidden_remainder_y
      - .offset:         54
        .size:           2
        .value_kind:     hidden_remainder_z
      - .offset:         72
        .size:           8
        .value_kind:     hidden_global_offset_x
      - .offset:         80
        .size:           8
        .value_kind:     hidden_global_offset_y
      - .offset:         88
        .size:           8
        .value_kind:     hidden_global_offset_z
      - .offset:         96
        .size:           2
        .value_kind:     hidden_grid_dims
    .group_segment_fixed_size: 0
    .kernarg_segment_align: 8
    .kernarg_segment_size: 288
    .language:       OpenCL C
    .language_version:
      - 2
      - 0
    .max_flat_workgroup_size: 256
    .name:           _ZN9rocsparseL19gpsv_strided_gatherILj256E21rocsparse_complex_numIfEEEviiiPKT0_PS3_
    .private_segment_fixed_size: 0
    .sgpr_count:     14
    .sgpr_spill_count: 0
    .symbol:         _ZN9rocsparseL19gpsv_strided_gatherILj256E21rocsparse_complex_numIfEEEviiiPKT0_PS3_.kd
    .uniform_work_group_size: 1
    .uses_dynamic_stack: false
    .vgpr_count:     10
    .vgpr_spill_count: 0
    .wavefront_size: 64
  - .args:
      - .offset:         0
        .size:           4
        .value_kind:     by_value
      - .offset:         4
        .size:           4
        .value_kind:     by_value
      - .offset:         8
        .size:           4
        .value_kind:     by_value
      - .address_space:  global
        .offset:         16
        .size:           8
        .value_kind:     global_buffer
      - .address_space:  global
        .offset:         24
        .size:           8
        .value_kind:     global_buffer
      - .address_space:  global
        .offset:         32
        .size:           8
        .value_kind:     global_buffer
      - .address_space:  global
        .offset:         40
        .size:           8
        .value_kind:     global_buffer
      - .address_space:  global
        .offset:         48
        .size:           8
        .value_kind:     global_buffer
      - .address_space:  global
        .offset:         56
        .size:           8
        .value_kind:     global_buffer
      - .address_space:  global
        .offset:         64
        .size:           8
        .value_kind:     global_buffer
      - .address_space:  global
        .offset:         72
        .size:           8
        .value_kind:     global_buffer
      - .address_space:  global
        .offset:         80
        .size:           8
        .value_kind:     global_buffer
      - .offset:         88
        .size:           4
        .value_kind:     hidden_block_count_x
      - .offset:         92
        .size:           4
        .value_kind:     hidden_block_count_y
      - .offset:         96
        .size:           4
        .value_kind:     hidden_block_count_z
      - .offset:         100
        .size:           2
        .value_kind:     hidden_group_size_x
      - .offset:         102
        .size:           2
        .value_kind:     hidden_group_size_y
      - .offset:         104
        .size:           2
        .value_kind:     hidden_group_size_z
      - .offset:         106
        .size:           2
        .value_kind:     hidden_remainder_x
      - .offset:         108
        .size:           2
        .value_kind:     hidden_remainder_y
      - .offset:         110
        .size:           2
        .value_kind:     hidden_remainder_z
      - .offset:         128
        .size:           8
        .value_kind:     hidden_global_offset_x
      - .offset:         136
        .size:           8
        .value_kind:     hidden_global_offset_y
      - .offset:         144
        .size:           8
        .value_kind:     hidden_global_offset_z
      - .offset:         152
        .size:           2
        .value_kind:     hidden_grid_dims
    .group_segment_fixed_size: 0
    .kernarg_segment_align: 8
    .kernarg_segment_size: 344
    .language:       OpenCL C
    .language_version:
      - 2
      - 0
    .max_flat_workgroup_size: 256
    .name:           _ZN9rocsparseL44gpsv_interleaved_batch_householder_qr_kernelILj256E21rocsparse_complex_numIfEEEviiiPT0_S4_S4_S4_S4_S4_S4_S4_S4_
    .private_segment_fixed_size: 0
    .sgpr_count:     39
    .sgpr_spill_count: 0
    .symbol:         _ZN9rocsparseL44gpsv_interleaved_batch_householder_qr_kernelILj256E21rocsparse_complex_numIfEEEviiiPT0_S4_S4_S4_S4_S4_S4_S4_S4_.kd
    .uniform_work_group_size: 1
    .uses_dynamic_stack: false
    .vgpr_count:     84
    .vgpr_spill_count: 0
    .wavefront_size: 64
  - .args:
      - .offset:         0
        .size:           4
        .value_kind:     by_value
      - .offset:         4
        .size:           4
        .value_kind:     by_value
      - .offset:         8
        .size:           4
        .value_kind:     by_value
      - .actual_access:  read_only
        .address_space:  global
        .offset:         16
        .size:           8
        .value_kind:     global_buffer
      - .address_space:  global
        .offset:         24
        .size:           8
        .value_kind:     global_buffer
      - .address_space:  global
        .offset:         32
        .size:           8
        .value_kind:     global_buffer
      - .address_space:  global
        .offset:         40
        .size:           8
        .value_kind:     global_buffer
      - .address_space:  global
        .offset:         48
        .size:           8
        .value_kind:     global_buffer
      - .address_space:  global
        .offset:         56
        .size:           8
        .value_kind:     global_buffer
      - .address_space:  global
        .offset:         64
        .size:           8
        .value_kind:     global_buffer
      - .address_space:  global
        .offset:         72
        .size:           8
        .value_kind:     global_buffer
    .group_segment_fixed_size: 0
    .kernarg_segment_align: 8
    .kernarg_segment_size: 80
    .language:       OpenCL C
    .language_version:
      - 2
      - 0
    .max_flat_workgroup_size: 128
    .name:           _ZN9rocsparseL39gpsv_interleaved_batch_givens_qr_kernelILj128E21rocsparse_complex_numIfEEEviiiPT0_S4_S4_S4_S4_S4_S4_S4_
    .private_segment_fixed_size: 0
    .sgpr_count:     33
    .sgpr_spill_count: 0
    .symbol:         _ZN9rocsparseL39gpsv_interleaved_batch_givens_qr_kernelILj128E21rocsparse_complex_numIfEEEviiiPT0_S4_S4_S4_S4_S4_S4_S4_.kd
    .uniform_work_group_size: 1
    .uses_dynamic_stack: false
    .vgpr_count:     62
    .vgpr_spill_count: 0
    .wavefront_size: 64
  - .args:
      - .offset:         0
        .size:           4
        .value_kind:     by_value
      - .offset:         4
        .size:           4
        .value_kind:     by_value
      - .offset:         8
        .size:           4
        .value_kind:     by_value
      - .actual_access:  read_only
        .address_space:  global
        .offset:         16
        .size:           8
        .value_kind:     global_buffer
      - .actual_access:  write_only
        .address_space:  global
        .offset:         24
        .size:           8
        .value_kind:     global_buffer
      - .offset:         32
        .size:           4
        .value_kind:     hidden_block_count_x
      - .offset:         36
        .size:           4
        .value_kind:     hidden_block_count_y
      - .offset:         40
        .size:           4
        .value_kind:     hidden_block_count_z
      - .offset:         44
        .size:           2
        .value_kind:     hidden_group_size_x
      - .offset:         46
        .size:           2
        .value_kind:     hidden_group_size_y
      - .offset:         48
        .size:           2
        .value_kind:     hidden_group_size_z
      - .offset:         50
        .size:           2
        .value_kind:     hidden_remainder_x
      - .offset:         52
        .size:           2
        .value_kind:     hidden_remainder_y
      - .offset:         54
        .size:           2
        .value_kind:     hidden_remainder_z
      - .offset:         72
        .size:           8
        .value_kind:     hidden_global_offset_x
      - .offset:         80
        .size:           8
        .value_kind:     hidden_global_offset_y
      - .offset:         88
        .size:           8
        .value_kind:     hidden_global_offset_z
      - .offset:         96
        .size:           2
        .value_kind:     hidden_grid_dims
    .group_segment_fixed_size: 0
    .kernarg_segment_align: 8
    .kernarg_segment_size: 288
    .language:       OpenCL C
    .language_version:
      - 2
      - 0
    .max_flat_workgroup_size: 256
    .name:           _ZN9rocsparseL19gpsv_strided_gatherILj256E21rocsparse_complex_numIdEEEviiiPKT0_PS3_
    .private_segment_fixed_size: 0
    .sgpr_count:     14
    .sgpr_spill_count: 0
    .symbol:         _ZN9rocsparseL19gpsv_strided_gatherILj256E21rocsparse_complex_numIdEEEviiiPKT0_PS3_.kd
    .uniform_work_group_size: 1
    .uses_dynamic_stack: false
    .vgpr_count:     12
    .vgpr_spill_count: 0
    .wavefront_size: 64
  - .args:
      - .offset:         0
        .size:           4
        .value_kind:     by_value
      - .offset:         4
        .size:           4
        .value_kind:     by_value
      - .offset:         8
        .size:           4
        .value_kind:     by_value
      - .address_space:  global
        .offset:         16
        .size:           8
        .value_kind:     global_buffer
      - .address_space:  global
        .offset:         24
        .size:           8
        .value_kind:     global_buffer
      - .address_space:  global
        .offset:         32
        .size:           8
        .value_kind:     global_buffer
      - .address_space:  global
        .offset:         40
        .size:           8
        .value_kind:     global_buffer
      - .address_space:  global
        .offset:         48
        .size:           8
        .value_kind:     global_buffer
      - .address_space:  global
        .offset:         56
        .size:           8
        .value_kind:     global_buffer
      - .address_space:  global
        .offset:         64
        .size:           8
        .value_kind:     global_buffer
      - .address_space:  global
        .offset:         72
        .size:           8
        .value_kind:     global_buffer
      - .address_space:  global
        .offset:         80
        .size:           8
        .value_kind:     global_buffer
      - .offset:         88
        .size:           4
        .value_kind:     hidden_block_count_x
      - .offset:         92
        .size:           4
        .value_kind:     hidden_block_count_y
      - .offset:         96
        .size:           4
        .value_kind:     hidden_block_count_z
      - .offset:         100
        .size:           2
        .value_kind:     hidden_group_size_x
      - .offset:         102
        .size:           2
        .value_kind:     hidden_group_size_y
      - .offset:         104
        .size:           2
        .value_kind:     hidden_group_size_z
      - .offset:         106
        .size:           2
        .value_kind:     hidden_remainder_x
      - .offset:         108
        .size:           2
        .value_kind:     hidden_remainder_y
      - .offset:         110
        .size:           2
        .value_kind:     hidden_remainder_z
      - .offset:         128
        .size:           8
        .value_kind:     hidden_global_offset_x
      - .offset:         136
        .size:           8
        .value_kind:     hidden_global_offset_y
      - .offset:         144
        .size:           8
        .value_kind:     hidden_global_offset_z
      - .offset:         152
        .size:           2
        .value_kind:     hidden_grid_dims
    .group_segment_fixed_size: 0
    .kernarg_segment_align: 8
    .kernarg_segment_size: 344
    .language:       OpenCL C
    .language_version:
      - 2
      - 0
    .max_flat_workgroup_size: 256
    .name:           _ZN9rocsparseL44gpsv_interleaved_batch_householder_qr_kernelILj256E21rocsparse_complex_numIdEEEviiiPT0_S4_S4_S4_S4_S4_S4_S4_S4_
    .private_segment_fixed_size: 0
    .sgpr_count:     46
    .sgpr_spill_count: 0
    .symbol:         _ZN9rocsparseL44gpsv_interleaved_batch_householder_qr_kernelILj256E21rocsparse_complex_numIdEEEviiiPT0_S4_S4_S4_S4_S4_S4_S4_S4_.kd
    .uniform_work_group_size: 1
    .uses_dynamic_stack: false
    .vgpr_count:     163
    .vgpr_spill_count: 0
    .wavefront_size: 64
  - .args:
      - .offset:         0
        .size:           4
        .value_kind:     by_value
      - .offset:         4
        .size:           4
        .value_kind:     by_value
      - .offset:         8
        .size:           4
        .value_kind:     by_value
      - .actual_access:  read_only
        .address_space:  global
        .offset:         16
        .size:           8
        .value_kind:     global_buffer
      - .address_space:  global
        .offset:         24
        .size:           8
        .value_kind:     global_buffer
      - .address_space:  global
        .offset:         32
        .size:           8
        .value_kind:     global_buffer
      - .address_space:  global
        .offset:         40
        .size:           8
        .value_kind:     global_buffer
      - .address_space:  global
        .offset:         48
        .size:           8
        .value_kind:     global_buffer
      - .address_space:  global
        .offset:         56
        .size:           8
        .value_kind:     global_buffer
      - .address_space:  global
        .offset:         64
        .size:           8
        .value_kind:     global_buffer
      - .address_space:  global
        .offset:         72
        .size:           8
        .value_kind:     global_buffer
    .group_segment_fixed_size: 0
    .kernarg_segment_align: 8
    .kernarg_segment_size: 80
    .language:       OpenCL C
    .language_version:
      - 2
      - 0
    .max_flat_workgroup_size: 128
    .name:           _ZN9rocsparseL39gpsv_interleaved_batch_givens_qr_kernelILj128E21rocsparse_complex_numIdEEEviiiPT0_S4_S4_S4_S4_S4_S4_S4_
    .private_segment_fixed_size: 0
    .sgpr_count:     36
    .sgpr_spill_count: 0
    .symbol:         _ZN9rocsparseL39gpsv_interleaved_batch_givens_qr_kernelILj128E21rocsparse_complex_numIdEEEviiiPT0_S4_S4_S4_S4_S4_S4_S4_.kd
    .uniform_work_group_size: 1
    .uses_dynamic_stack: false
    .vgpr_count:     99
    .vgpr_spill_count: 0
    .wavefront_size: 64
amdhsa.target:   amdgcn-amd-amdhsa--gfx906
amdhsa.version:
  - 1
  - 2
...

	.end_amdgpu_metadata
